;; amdgpu-corpus repo=ROCm/rocFFT kind=compiled arch=gfx906 opt=O3
	.text
	.amdgcn_target "amdgcn-amd-amdhsa--gfx906"
	.amdhsa_code_object_version 6
	.protected	bluestein_single_fwd_len440_dim1_half_op_CI_CI ; -- Begin function bluestein_single_fwd_len440_dim1_half_op_CI_CI
	.globl	bluestein_single_fwd_len440_dim1_half_op_CI_CI
	.p2align	8
	.type	bluestein_single_fwd_len440_dim1_half_op_CI_CI,@function
bluestein_single_fwd_len440_dim1_half_op_CI_CI: ; @bluestein_single_fwd_len440_dim1_half_op_CI_CI
; %bb.0:
	s_load_dwordx4 s[0:3], s[4:5], 0x28
	v_mul_u32_u24_e32 v1, 0x4a8, v0
	v_add_u32_sdwa v15, s6, v1 dst_sel:DWORD dst_unused:UNUSED_PAD src0_sel:DWORD src1_sel:WORD_1
	v_mov_b32_e32 v16, 0
	s_waitcnt lgkmcnt(0)
	v_cmp_gt_u64_e32 vcc, s[0:1], v[15:16]
	s_and_saveexec_b64 s[0:1], vcc
	s_cbranch_execz .LBB0_23
; %bb.1:
	s_load_dwordx2 s[6:7], s[4:5], 0x0
	s_load_dwordx2 s[12:13], s[4:5], 0x38
	v_mov_b32_e32 v2, 55
	v_mul_lo_u16_sdwa v1, v1, v2 dst_sel:DWORD dst_unused:UNUSED_PAD src0_sel:WORD_1 src1_sel:DWORD
	v_sub_u16_e32 v27, v0, v1
	v_cmp_gt_u16_e32 vcc, 40, v27
	v_lshlrev_b32_e32 v28, 2, v27
	s_and_saveexec_b64 s[14:15], vcc
	s_cbranch_execz .LBB0_3
; %bb.2:
	s_load_dwordx2 s[0:1], s[4:5], 0x18
	v_or_b32_e32 v13, 0x140, v27
	s_waitcnt lgkmcnt(0)
	s_load_dwordx4 s[8:11], s[0:1], 0x0
	global_load_dword v8, v28, s[6:7]
	global_load_dword v9, v28, s[6:7] offset:160
	s_waitcnt lgkmcnt(0)
	v_mad_u64_u32 v[0:1], s[0:1], s10, v15, 0
	v_mad_u64_u32 v[2:3], s[0:1], s8, v27, 0
	;; [unrolled: 1-line block ×4, first 2 shown]
	v_mov_b32_e32 v1, v4
	v_lshlrev_b64 v[0:1], 2, v[0:1]
	v_mov_b32_e32 v3, v5
	v_mov_b32_e32 v6, s3
	v_lshlrev_b64 v[2:3], 2, v[2:3]
	v_add_co_u32_e64 v7, s[0:1], s2, v0
	v_addc_co_u32_e64 v6, s[0:1], v6, v1, s[0:1]
	v_add_co_u32_e64 v0, s[0:1], v7, v2
	v_addc_co_u32_e64 v1, s[0:1], v6, v3, s[0:1]
	s_mul_i32 s0, s9, 0xa0
	s_mul_hi_u32 s2, s8, 0xa0
	s_add_i32 s2, s2, s0
	s_mul_i32 s3, s8, 0xa0
	v_mov_b32_e32 v3, s2
	v_add_co_u32_e64 v2, s[0:1], s3, v0
	v_addc_co_u32_e64 v3, s[0:1], v1, v3, s[0:1]
	v_mov_b32_e32 v5, s2
	v_add_co_u32_e64 v4, s[0:1], s3, v2
	v_addc_co_u32_e64 v5, s[0:1], v3, v5, s[0:1]
	global_load_dword v10, v[0:1], off
	global_load_dword v11, v[2:3], off
	;; [unrolled: 1-line block ×3, first 2 shown]
	v_mad_u64_u32 v[0:1], s[0:1], s8, v13, 0
	v_mov_b32_e32 v3, s2
	v_add_co_u32_e64 v2, s[0:1], s3, v4
	v_addc_co_u32_e64 v3, s[0:1], v5, v3, s[0:1]
	v_mad_u64_u32 v[4:5], s[0:1], s9, v13, v[1:2]
	global_load_dword v16, v28, s[6:7] offset:320
	global_load_dword v5, v[2:3], off
	global_load_dword v13, v28, s[6:7] offset:480
	v_mov_b32_e32 v14, s2
	v_add_co_u32_e64 v2, s[0:1], s3, v2
	v_addc_co_u32_e64 v3, s[0:1], v3, v14, s[0:1]
	v_mov_b32_e32 v1, v4
	global_load_dword v4, v[2:3], off
	global_load_dword v17, v28, s[6:7] offset:640
	v_add_co_u32_e64 v2, s[0:1], s3, v2
	v_addc_co_u32_e64 v3, s[0:1], v3, v14, s[0:1]
	global_load_dword v14, v28, s[6:7] offset:800
	global_load_dword v18, v28, s[6:7] offset:960
	;; [unrolled: 1-line block ×3, first 2 shown]
	global_load_dword v20, v[2:3], off
	v_mov_b32_e32 v21, s2
	v_add_co_u32_e64 v2, s[0:1], s3, v2
	v_addc_co_u32_e64 v3, s[0:1], v3, v21, s[0:1]
	global_load_dword v22, v[2:3], off
	v_add_co_u32_e64 v2, s[0:1], s3, v2
	v_addc_co_u32_e64 v3, s[0:1], v3, v21, s[0:1]
	v_lshlrev_b64 v[0:1], 2, v[0:1]
	global_load_dword v21, v[2:3], off
	v_add_co_u32_e64 v0, s[0:1], v7, v0
	v_addc_co_u32_e64 v1, s[0:1], v6, v1, s[0:1]
	v_mov_b32_e32 v6, 0x140
	v_mad_u64_u32 v[2:3], s[0:1], s8, v6, v[2:3]
	global_load_dword v6, v[0:1], off
	global_load_dword v7, v28, s[6:7] offset:1280
	s_mul_i32 s0, s9, 0x140
	v_add_u32_e32 v3, s0, v3
	global_load_dword v23, v[2:3], off
	global_load_dword v24, v28, s[6:7] offset:1440
	v_mov_b32_e32 v1, s2
	v_add_co_u32_e64 v0, s[0:1], s3, v2
	v_addc_co_u32_e64 v1, s[0:1], v3, v1, s[0:1]
	global_load_dword v2, v[0:1], off
	global_load_dword v3, v28, s[6:7] offset:1600
	s_waitcnt vmcnt(19)
	v_lshrrev_b32_e32 v0, 16, v10
	v_mul_f16_sdwa v1, v8, v10 dst_sel:DWORD dst_unused:UNUSED_PAD src0_sel:WORD_1 src1_sel:DWORD
	v_fma_f16 v1, v8, v0, -v1
	v_mul_f16_sdwa v0, v8, v0 dst_sel:DWORD dst_unused:UNUSED_PAD src0_sel:WORD_1 src1_sel:DWORD
	v_fma_f16 v0, v8, v10, v0
	s_waitcnt vmcnt(18)
	v_lshrrev_b32_e32 v8, 16, v11
	v_mul_f16_sdwa v10, v9, v11 dst_sel:DWORD dst_unused:UNUSED_PAD src0_sel:WORD_1 src1_sel:DWORD
	v_fma_f16 v10, v9, v8, -v10
	v_mul_f16_sdwa v8, v9, v8 dst_sel:DWORD dst_unused:UNUSED_PAD src0_sel:WORD_1 src1_sel:DWORD
	v_fma_f16 v8, v9, v11, v8
	v_pack_b32_f16 v0, v0, v1
	v_pack_b32_f16 v1, v8, v10
	s_waitcnt vmcnt(17)
	v_lshrrev_b32_e32 v9, 16, v12
	s_waitcnt vmcnt(16)
	v_mul_f16_sdwa v11, v16, v12 dst_sel:DWORD dst_unused:UNUSED_PAD src0_sel:WORD_1 src1_sel:DWORD
	ds_write2_b32 v28, v0, v1 offset1:40
	s_waitcnt vmcnt(15)
	v_lshrrev_b32_e32 v0, 16, v5
	s_waitcnt vmcnt(14)
	v_mul_f16_sdwa v1, v13, v5 dst_sel:DWORD dst_unused:UNUSED_PAD src0_sel:WORD_1 src1_sel:DWORD
	v_fma_f16 v11, v16, v9, -v11
	v_mul_f16_sdwa v9, v16, v9 dst_sel:DWORD dst_unused:UNUSED_PAD src0_sel:WORD_1 src1_sel:DWORD
	v_fma_f16 v1, v13, v0, -v1
	v_mul_f16_sdwa v0, v13, v0 dst_sel:DWORD dst_unused:UNUSED_PAD src0_sel:WORD_1 src1_sel:DWORD
	v_fma_f16 v9, v16, v12, v9
	v_fma_f16 v0, v13, v5, v0
	v_pack_b32_f16 v5, v9, v11
	v_pack_b32_f16 v0, v0, v1
	ds_write2_b32 v28, v5, v0 offset0:80 offset1:120
	s_waitcnt vmcnt(13)
	v_lshrrev_b32_e32 v0, 16, v4
	s_waitcnt vmcnt(12)
	v_mul_f16_sdwa v1, v17, v0 dst_sel:DWORD dst_unused:UNUSED_PAD src0_sel:WORD_1 src1_sel:DWORD
	v_fma_f16 v1, v17, v4, v1
	v_mul_f16_sdwa v4, v17, v4 dst_sel:DWORD dst_unused:UNUSED_PAD src0_sel:WORD_1 src1_sel:DWORD
	v_fma_f16 v0, v17, v0, -v4
	v_pack_b32_f16 v0, v1, v0
	s_waitcnt vmcnt(8)
	v_lshrrev_b32_e32 v1, 16, v20
	v_mul_f16_sdwa v4, v14, v1 dst_sel:DWORD dst_unused:UNUSED_PAD src0_sel:WORD_1 src1_sel:DWORD
	v_mul_f16_sdwa v5, v14, v20 dst_sel:DWORD dst_unused:UNUSED_PAD src0_sel:WORD_1 src1_sel:DWORD
	v_fma_f16 v4, v14, v20, v4
	v_fma_f16 v1, v14, v1, -v5
	v_pack_b32_f16 v1, v4, v1
	ds_write2_b32 v28, v0, v1 offset0:160 offset1:200
	s_waitcnt vmcnt(7)
	v_lshrrev_b32_e32 v0, 16, v22
	v_mul_f16_sdwa v1, v18, v0 dst_sel:DWORD dst_unused:UNUSED_PAD src0_sel:WORD_1 src1_sel:DWORD
	v_mul_f16_sdwa v4, v18, v22 dst_sel:DWORD dst_unused:UNUSED_PAD src0_sel:WORD_1 src1_sel:DWORD
	v_fma_f16 v1, v18, v22, v1
	v_fma_f16 v0, v18, v0, -v4
	v_pack_b32_f16 v0, v1, v0
	s_waitcnt vmcnt(6)
	v_lshrrev_b32_e32 v1, 16, v21
	v_mul_f16_sdwa v4, v19, v1 dst_sel:DWORD dst_unused:UNUSED_PAD src0_sel:WORD_1 src1_sel:DWORD
	v_mul_f16_sdwa v5, v19, v21 dst_sel:DWORD dst_unused:UNUSED_PAD src0_sel:WORD_1 src1_sel:DWORD
	v_fma_f16 v4, v19, v21, v4
	v_fma_f16 v1, v19, v1, -v5
	v_pack_b32_f16 v1, v4, v1
	v_add_u32_e32 v4, 0x200, v28
	ds_write2_b32 v4, v0, v1 offset0:112 offset1:152
	s_waitcnt vmcnt(5)
	v_lshrrev_b32_e32 v0, 16, v6
	s_waitcnt vmcnt(4)
	v_mul_f16_sdwa v1, v7, v0 dst_sel:DWORD dst_unused:UNUSED_PAD src0_sel:WORD_1 src1_sel:DWORD
	v_mul_f16_sdwa v4, v7, v6 dst_sel:DWORD dst_unused:UNUSED_PAD src0_sel:WORD_1 src1_sel:DWORD
	v_fma_f16 v1, v7, v6, v1
	v_fma_f16 v0, v7, v0, -v4
	v_pack_b32_f16 v0, v1, v0
	s_waitcnt vmcnt(3)
	v_lshrrev_b32_e32 v1, 16, v23
	s_waitcnt vmcnt(2)
	v_mul_f16_sdwa v4, v24, v1 dst_sel:DWORD dst_unused:UNUSED_PAD src0_sel:WORD_1 src1_sel:DWORD
	v_mul_f16_sdwa v5, v24, v23 dst_sel:DWORD dst_unused:UNUSED_PAD src0_sel:WORD_1 src1_sel:DWORD
	v_fma_f16 v4, v24, v23, v4
	v_fma_f16 v1, v24, v1, -v5
	v_pack_b32_f16 v1, v4, v1
	v_add_u32_e32 v4, 0x400, v28
	ds_write2_b32 v4, v0, v1 offset0:64 offset1:104
	s_waitcnt vmcnt(1)
	v_lshrrev_b32_e32 v0, 16, v2
	s_waitcnt vmcnt(0)
	v_mul_f16_sdwa v1, v3, v0 dst_sel:DWORD dst_unused:UNUSED_PAD src0_sel:WORD_1 src1_sel:DWORD
	v_fma_f16 v1, v3, v2, v1
	v_mul_f16_sdwa v2, v3, v2 dst_sel:DWORD dst_unused:UNUSED_PAD src0_sel:WORD_1 src1_sel:DWORD
	v_fma_f16 v0, v3, v0, -v2
	v_pack_b32_f16 v0, v1, v0
	ds_write_b32 v28, v0 offset:1600
.LBB0_3:
	s_or_b64 exec, exec, s[14:15]
	s_load_dwordx2 s[0:1], s[4:5], 0x20
	s_load_dwordx2 s[14:15], s[4:5], 0x8
	v_mov_b32_e32 v0, 0
	s_waitcnt lgkmcnt(0)
	; wave barrier
	s_waitcnt lgkmcnt(0)
                                        ; implicit-def: $vgpr12
                                        ; implicit-def: $vgpr7
                                        ; implicit-def: $vgpr5
                                        ; implicit-def: $vgpr3
                                        ; implicit-def: $vgpr9
	s_and_saveexec_b64 s[2:3], vcc
	s_cbranch_execz .LBB0_5
; %bb.4:
	ds_read2_b32 v[0:1], v28 offset1:40
	ds_read2_b32 v[8:9], v28 offset0:80 offset1:120
	ds_read2_b32 v[2:3], v28 offset0:160 offset1:200
	v_add_u32_e32 v4, 0x200, v28
	v_add_u32_e32 v6, 0x400, v28
	ds_read2_b32 v[4:5], v4 offset0:112 offset1:152
	ds_read2_b32 v[6:7], v6 offset0:64 offset1:104
	ds_read_b32 v12, v28 offset:1600
.LBB0_5:
	s_or_b64 exec, exec, s[2:3]
	s_waitcnt lgkmcnt(0)
	v_pk_add_f16 v11, v1, v12 neg_lo:[0,1] neg_hi:[0,1]
	s_mov_b32 s8, 0xb853
	v_pk_add_f16 v10, v12, v1
	s_movk_i32 s4, 0x3abb
	v_mul_f16_sdwa v21, v11, s8 dst_sel:DWORD dst_unused:UNUSED_PAD src0_sel:WORD_1 src1_sel:DWORD
	v_fma_f16 v13, v10, s4, v21
	v_lshrrev_b32_e32 v36, 16, v10
	s_movk_i32 s5, 0x36a6
	v_mul_f16_e32 v32, 0xbb47, v11
	v_add_f16_e32 v16, v13, v0
	s_mov_b32 s2, 0xbb47
	v_fma_f16 v13, v36, s5, -v32
	v_pk_add_f16 v14, v8, v7 neg_lo:[0,1] neg_hi:[0,1]
	v_add_f16_sdwa v17, v13, v0 dst_sel:DWORD dst_unused:UNUSED_PAD src0_sel:DWORD src1_sel:WORD_1
	v_pk_add_f16 v13, v7, v8
	v_mul_f16_sdwa v24, v14, s2 dst_sel:DWORD dst_unused:UNUSED_PAD src0_sel:WORD_1 src1_sel:DWORD
	v_fma_f16 v18, v13, s5, v24
	v_lshrrev_b32_e32 v41, 16, v13
	s_mov_b32 s10, 0xb93d
	v_mul_f16_e32 v34, 0xba0c, v14
	s_mov_b32 s17, 0xbbeb
	v_add_f16_e32 v18, v18, v16
	v_fma_f16 v16, v41, s10, -v34
	s_mov_b32 s11, 0xb08e
	v_mul_f16_sdwa v37, v11, s17 dst_sel:DWORD dst_unused:UNUSED_PAD src0_sel:WORD_1 src1_sel:DWORD
	s_movk_i32 s2, 0x3482
	v_add_f16_e32 v19, v16, v17
	v_fma_f16 v16, v10, s11, v37
	s_mov_b32 s9, 0xbbad
	v_mul_f16_sdwa v38, v14, s2 dst_sel:DWORD dst_unused:UNUSED_PAD src0_sel:WORD_1 src1_sel:DWORD
	v_add_f16_e32 v16, v16, v0
	v_fma_f16 v17, v13, s9, v38
	v_mul_f16_e32 v42, 0xbbeb, v11
	v_add_f16_e32 v20, v17, v16
	v_fma_f16 v16, v36, s11, -v42
	v_mul_f16_e32 v43, 0x3482, v14
	v_add_f16_sdwa v16, v16, v0 dst_sel:DWORD dst_unused:UNUSED_PAD src0_sel:DWORD src1_sel:WORD_1
	v_fma_f16 v17, v41, s9, -v43
	v_add_f16_e32 v22, v17, v16
	v_pk_add_f16 v17, v9, v6 neg_lo:[0,1] neg_hi:[0,1]
	v_pk_add_f16 v16, v6, v9
	v_mul_f16_sdwa v35, v17, s17 dst_sel:DWORD dst_unused:UNUSED_PAD src0_sel:WORD_1 src1_sel:DWORD
	v_fma_f16 v23, v16, s11, v35
	v_lshrrev_b32_e32 v48, 16, v16
	v_mul_f16_e32 v40, 0x3482, v17
	s_movk_i32 s16, 0x3b47
	v_add_f16_e32 v18, v23, v18
	v_fma_f16 v23, v48, s9, -v40
	v_mul_f16_sdwa v44, v17, s16 dst_sel:DWORD dst_unused:UNUSED_PAD src0_sel:WORD_1 src1_sel:DWORD
	v_add_f16_e32 v23, v23, v19
	v_fma_f16 v19, v16, s5, v44
	v_mul_f16_e32 v47, 0x3b47, v17
	v_add_f16_e32 v25, v19, v20
	v_fma_f16 v19, v48, s5, -v47
	s_mov_b32 s18, 0xba0c
	v_pk_add_f16 v20, v2, v5 neg_lo:[0,1] neg_hi:[0,1]
	v_add_f16_e32 v22, v19, v22
	v_pk_add_f16 v19, v5, v2
	v_mul_f16_sdwa v39, v20, s18 dst_sel:DWORD dst_unused:UNUSED_PAD src0_sel:WORD_1 src1_sel:DWORD
	v_fma_f16 v26, v19, s10, v39
	v_lshrrev_b32_e32 v52, 16, v19
	v_mul_f16_e32 v46, 0x3beb, v20
	v_add_f16_e32 v18, v26, v18
	v_fma_f16 v26, v52, s11, -v46
	v_mul_f16_sdwa v49, v20, s8 dst_sel:DWORD dst_unused:UNUSED_PAD src0_sel:WORD_1 src1_sel:DWORD
	v_add_f16_e32 v26, v26, v23
	v_fma_f16 v23, v19, s4, v49
	v_mul_f16_e32 v50, 0xb853, v20
	v_add_f16_e32 v29, v23, v25
	v_fma_f16 v23, v52, s4, -v50
	v_add_f16_e32 v31, v23, v22
	s_mov_b32 s19, 0xb482
	v_pk_add_f16 v23, v3, v4 neg_lo:[0,1] neg_hi:[0,1]
	v_pk_add_f16 v22, v4, v3
	v_mul_f16_sdwa v45, v23, s19 dst_sel:DWORD dst_unused:UNUSED_PAD src0_sel:WORD_1 src1_sel:DWORD
	v_fma_f16 v25, v22, s9, v45
	v_lshrrev_b32_e32 v59, 16, v22
	v_mul_f16_e32 v51, 0x3853, v23
	v_add_f16_e32 v30, v25, v18
	v_fma_f16 v18, v59, s4, -v51
	v_mul_f16_e32 v62, 0xba0c, v23
	v_add_f16_e32 v25, v18, v26
	v_fma_f16 v18, v59, s10, -v62
	s_mov_b32 s2, 0x3abb36a6
	v_add_f16_e32 v26, v18, v31
	s_mov_b32 s3, 0xbb47b853
	v_pk_mul_f16 v18, v10, s2
	s_mov_b32 s2, 0x36a6b93d
	v_pk_fma_f16 v53, v11, s3, v18 op_sel:[0,0,1] op_sel_hi:[1,1,0] neg_lo:[1,0,0] neg_hi:[1,0,0]
	v_pk_fma_f16 v54, v11, s3, v18 op_sel:[0,0,1] op_sel_hi:[1,1,0]
	s_mov_b32 s3, 0xba0cbb47
	v_pk_mul_f16 v18, v13, s2
	s_mov_b32 s2, 0xb08ebbad
	v_pk_fma_f16 v55, v14, s3, v18 op_sel:[0,0,1] op_sel_hi:[1,1,0] neg_lo:[1,0,0] neg_hi:[1,0,0]
	v_pk_fma_f16 v56, v14, s3, v18 op_sel:[0,0,1] op_sel_hi:[1,1,0]
	;; [unrolled: 5-line block ×3, first 2 shown]
	s_mov_b32 s3, 0x3bebba0c
	v_pk_mul_f16 v18, v19, s2
	v_pk_fma_f16 v60, v20, s3, v18 op_sel:[0,0,1] op_sel_hi:[1,1,0] neg_lo:[1,0,0] neg_hi:[1,0,0]
	v_pk_fma_f16 v61, v20, s3, v18 op_sel:[0,0,1] op_sel_hi:[1,1,0]
	v_add_f16_sdwa v18, v53, v0 dst_sel:DWORD dst_unused:UNUSED_PAD src0_sel:DWORD src1_sel:WORD_1
	s_mov_b32 s2, 0xbbad3abb
	v_add_f16_e32 v18, v55, v18
	s_mov_b32 s3, 0x3853b482
	v_add_f16_e32 v18, v57, v18
	v_pk_mul_f16 v33, v22, s2
	v_add_f16_e32 v18, v60, v18
	v_pk_fma_f16 v63, v23, s3, v33 op_sel:[0,0,1] op_sel_hi:[1,1,0] neg_lo:[1,0,0] neg_hi:[1,0,0]
	v_add_f16_e32 v31, v63, v18
	v_add_f16_sdwa v18, v54, v0 dst_sel:DWORD dst_unused:UNUSED_PAD src0_sel:WORD_1 src1_sel:DWORD
	v_add_f16_sdwa v18, v56, v18 dst_sel:DWORD dst_unused:UNUSED_PAD src0_sel:WORD_1 src1_sel:DWORD
	v_add_f16_sdwa v18, v58, v18 dst_sel:DWORD dst_unused:UNUSED_PAD src0_sel:WORD_1 src1_sel:DWORD
	v_pk_fma_f16 v64, v23, s3, v33 op_sel:[0,0,1] op_sel_hi:[1,1,0]
	v_add_f16_sdwa v18, v61, v18 dst_sel:DWORD dst_unused:UNUSED_PAD src0_sel:WORD_1 src1_sel:DWORD
	v_mul_f16_sdwa v65, v23, s18 dst_sel:DWORD dst_unused:UNUSED_PAD src0_sel:WORD_1 src1_sel:DWORD
	v_add_f16_sdwa v33, v64, v18 dst_sel:DWORD dst_unused:UNUSED_PAD src0_sel:WORD_1 src1_sel:DWORD
	v_fma_f16 v18, v22, s10, v65
	s_movk_i32 s20, 0x3beb
	s_movk_i32 s21, 0x3853
	v_add_f16_e32 v18, v18, v29
	v_mul_lo_u16_e32 v29, 11, v27
	s_waitcnt lgkmcnt(0)
	; wave barrier
	s_and_saveexec_b64 s[2:3], vcc
	s_cbranch_execz .LBB0_7
; %bb.6:
	v_pk_add_f16 v1, v1, v0
	v_pk_add_f16 v1, v8, v1
	;; [unrolled: 1-line block ×3, first 2 shown]
	v_mul_f16_e32 v66, 0x3abb, v10
	v_mul_f16_e32 v68, 0x36a6, v36
	v_pk_add_f16 v1, v2, v1
	v_mul_f16_e32 v69, 0xb08e, v10
	v_mul_f16_e32 v70, 0x36a6, v13
	;; [unrolled: 1-line block ×3, first 2 shown]
	v_add_f16_e32 v32, v32, v68
	v_sub_f16_e32 v21, v66, v21
	v_pk_add_f16 v1, v3, v1
	v_mul_f16_e32 v72, 0xbbad, v13
	v_mul_f16_e32 v73, 0xb08e, v16
	;; [unrolled: 1-line block ×3, first 2 shown]
	v_sub_f16_e32 v37, v69, v37
	v_add_f16_sdwa v32, v32, v0 dst_sel:DWORD dst_unused:UNUSED_PAD src0_sel:DWORD src1_sel:WORD_1
	v_add_f16_e32 v34, v34, v71
	v_add_f16_e32 v21, v21, v0
	v_sub_f16_e32 v24, v70, v24
	v_pk_add_f16 v1, v4, v1
	v_mul_f16_e32 v36, 0xb08e, v36
	v_mul_f16_e32 v75, 0x36a6, v16
	;; [unrolled: 1-line block ×4, first 2 shown]
	v_add_f16_e32 v37, v37, v0
	v_sub_f16_e32 v38, v72, v38
	v_add_f16_e32 v32, v34, v32
	v_add_f16_e32 v34, v40, v74
	;; [unrolled: 1-line block ×3, first 2 shown]
	v_sub_f16_e32 v24, v73, v35
	v_pk_add_f16 v1, v5, v1
	v_mul_f16_e32 v41, 0xbbad, v41
	v_mul_f16_e32 v78, 0x3abb, v19
	;; [unrolled: 1-line block ×4, first 2 shown]
	v_add_f16_e32 v36, v42, v36
	v_add_f16_e32 v37, v38, v37
	v_sub_f16_e32 v38, v75, v44
	v_add_f16_e32 v32, v34, v32
	v_add_f16_e32 v34, v46, v77
	;; [unrolled: 1-line block ×3, first 2 shown]
	v_sub_f16_e32 v24, v76, v39
	v_pk_add_f16 v1, v6, v1
	v_mul_f16_e32 v48, 0x36a6, v48
	v_mul_f16_e32 v81, 0xb93d, v22
	v_add_f16_sdwa v36, v36, v0 dst_sel:DWORD dst_unused:UNUSED_PAD src0_sel:DWORD src1_sel:WORD_1
	v_add_f16_e32 v41, v43, v41
	v_add_f16_e32 v37, v38, v37
	v_sub_f16_e32 v38, v78, v49
	v_add_f16_e32 v32, v34, v32
	v_add_f16_e32 v34, v51, v80
	s_mov_b32 s22, 0xffff
	v_add_f16_e32 v21, v24, v21
	v_sub_f16_e32 v24, v79, v45
	v_pk_add_f16 v1, v7, v1
	v_mul_f16_e32 v52, 0x3abb, v52
	v_add_f16_e32 v36, v41, v36
	v_add_f16_e32 v41, v47, v48
	;; [unrolled: 1-line block ×3, first 2 shown]
	v_sub_f16_e32 v38, v81, v65
	v_add_f16_e32 v32, v34, v32
	v_bfi_b32 v34, s22, v54, v53
	v_add_f16_e32 v21, v24, v21
	v_lshlrev_b32_e32 v24, 2, v29
	v_pk_add_f16 v1, v12, v1
	v_mul_f16_e32 v59, 0xb93d, v59
	v_add_f16_e32 v36, v41, v36
	v_add_f16_e32 v41, v50, v52
	;; [unrolled: 1-line block ×3, first 2 shown]
	v_bfi_b32 v38, s22, v56, v55
	ds_write_b32 v24, v1
	v_pk_add_f16 v1, v34, v0 op_sel:[0,1] op_sel_hi:[1,0]
	v_add_f16_e32 v36, v41, v36
	v_add_f16_e32 v41, v62, v59
	v_bfi_b32 v40, s22, v58, v57
	v_pk_add_f16 v1, v38, v1
	v_add_f16_e32 v36, v41, v36
	v_bfi_b32 v41, s22, v61, v60
	v_pk_add_f16 v1, v40, v1
	v_bfi_b32 v42, s22, v64, v63
	v_pk_add_f16 v1, v41, v1
	v_pk_add_f16 v1, v42, v1
	v_alignbit_b32 v2, v32, v1, 16
	v_pack_b32_f16 v1, v21, v1
	ds_write2_b32 v24, v1, v2 offset0:1 offset1:2
	v_pk_mul_f16 v1, v10, s9 op_sel_hi:[1,0]
	v_pk_fma_f16 v2, v11, s19, v1 op_sel:[0,0,1] op_sel_hi:[1,0,0] neg_lo:[1,0,0] neg_hi:[1,0,0]
	v_pk_mul_f16 v4, v13, s4 op_sel_hi:[1,0]
	v_pk_fma_f16 v1, v11, s19, v1 op_sel:[0,0,1] op_sel_hi:[1,0,0]
	v_pk_fma_f16 v5, v14, s21, v4 op_sel:[0,0,1] op_sel_hi:[1,0,0] neg_lo:[1,0,0] neg_hi:[1,0,0]
	v_pk_mul_f16 v6, v16, s10 op_sel_hi:[1,0]
	v_pk_add_f16 v1, v1, v0 op_sel:[0,1] op_sel_hi:[1,0]
	v_pk_fma_f16 v4, v14, s21, v4 op_sel:[0,0,1] op_sel_hi:[1,0,0]
	v_pk_mul_f16 v8, v19, s5 op_sel_hi:[1,0]
	v_pk_add_f16 v1, v4, v1
	v_pk_fma_f16 v4, v17, s18, v6 op_sel:[0,0,1] op_sel_hi:[1,0,0]
	v_alignbit_b32 v67, s0, v0, 16
	v_pk_mul_f16 v12, v22, s11 op_sel_hi:[1,0]
	v_pk_add_f16 v1, v4, v1
	v_pk_fma_f16 v4, v20, s16, v8 op_sel:[0,0,1] op_sel_hi:[1,0,0]
	v_pk_add_f16 v3, v2, v67
	v_pk_add_f16 v1, v4, v1
	v_pk_fma_f16 v4, v23, s17, v12 op_sel:[0,0,1] op_sel_hi:[1,0,0]
	v_alignbit_b32 v2, s0, v2, 16
	v_pk_fma_f16 v7, v17, s18, v6 op_sel:[0,0,1] op_sel_hi:[1,0,0] neg_lo:[1,0,0] neg_hi:[1,0,0]
	v_pk_add_f16 v1, v4, v1
	v_pk_add_f16 v2, v2, v0
	v_alignbit_b32 v4, s0, v5, 16
	v_pk_add_f16 v3, v5, v3
	v_pk_fma_f16 v9, v20, s16, v8 op_sel:[0,0,1] op_sel_hi:[1,0,0] neg_lo:[1,0,0] neg_hi:[1,0,0]
	v_pk_add_f16 v2, v4, v2
	v_alignbit_b32 v4, s0, v7, 16
	v_pk_add_f16 v3, v7, v3
	v_pk_fma_f16 v21, v23, s17, v12 op_sel:[0,0,1] op_sel_hi:[1,0,0] neg_lo:[1,0,0] neg_hi:[1,0,0]
	v_pk_add_f16 v2, v4, v2
	v_alignbit_b32 v4, s0, v9, 16
	v_pk_add_f16 v3, v9, v3
	v_pk_add_f16 v2, v4, v2
	v_alignbit_b32 v4, s0, v21, 16
	v_pk_add_f16 v3, v21, v3
	v_pk_add_f16 v2, v4, v2
	v_alignbit_b32 v3, v3, v1, 16
	v_pack_b32_f16 v1, v2, v1
	ds_write2_b32 v24, v1, v3 offset0:5 offset1:6
	v_pk_mul_f16 v1, v11, s18 op_sel_hi:[1,0]
	v_pk_fma_f16 v2, v10, s10, v1 op_sel:[0,0,1] op_sel_hi:[1,0,0]
	v_pk_fma_f16 v1, v10, s10, v1 op_sel:[0,0,1] op_sel_hi:[1,0,0] neg_lo:[0,0,1] neg_hi:[0,0,1]
	v_pk_mul_f16 v4, v14, s20 op_sel_hi:[1,0]
	v_bfi_b32 v3, s22, v2, v1
	v_pk_fma_f16 v5, v13, s11, v4 op_sel:[0,0,1] op_sel_hi:[1,0,0]
	v_pk_fma_f16 v4, v13, s11, v4 op_sel:[0,0,1] op_sel_hi:[1,0,0] neg_lo:[0,0,1] neg_hi:[0,0,1]
	v_pk_add_f16 v3, v3, v0
	v_bfi_b32 v6, s22, v5, v4
	v_pk_add_f16 v3, v6, v3
	v_pk_mul_f16 v6, v17, s8 op_sel_hi:[1,0]
	v_pk_fma_f16 v7, v16, s4, v6 op_sel:[0,0,1] op_sel_hi:[1,0,0]
	v_pk_fma_f16 v6, v16, s4, v6 op_sel:[0,0,1] op_sel_hi:[1,0,0] neg_lo:[0,0,1] neg_hi:[0,0,1]
	v_bfi_b32 v8, s22, v7, v6
	v_pk_add_f16 v3, v8, v3
	v_pk_mul_f16 v8, v20, s19 op_sel_hi:[1,0]
	v_lshrrev_b32_e32 v2, 16, v2
	v_pk_fma_f16 v9, v19, s9, v8 op_sel:[0,0,1] op_sel_hi:[1,0,0]
	v_pk_fma_f16 v8, v19, s9, v8 op_sel:[0,0,1] op_sel_hi:[1,0,0] neg_lo:[0,0,1] neg_hi:[0,0,1]
	v_add_f16_sdwa v2, v2, v0 dst_sel:DWORD dst_unused:UNUSED_PAD src0_sel:DWORD src1_sel:WORD_1
	v_add_f16_e32 v0, v1, v0
	v_bfi_b32 v10, s22, v9, v8
	v_add_f16_sdwa v2, v5, v2 dst_sel:DWORD dst_unused:UNUSED_PAD src0_sel:WORD_1 src1_sel:DWORD
	v_add_f16_e32 v0, v4, v0
	v_pk_add_f16 v3, v10, v3
	v_pk_mul_f16 v10, v23, s16 op_sel_hi:[1,0]
	v_add_f16_sdwa v2, v7, v2 dst_sel:DWORD dst_unused:UNUSED_PAD src0_sel:WORD_1 src1_sel:DWORD
	v_add_f16_e32 v0, v6, v0
	v_pk_fma_f16 v11, v22, s5, v10 op_sel:[0,0,1] op_sel_hi:[1,0,0]
	v_pk_fma_f16 v10, v22, s5, v10 op_sel:[0,0,1] op_sel_hi:[1,0,0] neg_lo:[0,0,1] neg_hi:[0,0,1]
	v_add_f16_sdwa v2, v9, v2 dst_sel:DWORD dst_unused:UNUSED_PAD src0_sel:WORD_1 src1_sel:DWORD
	v_add_f16_e32 v0, v8, v0
	v_add_f16_sdwa v2, v11, v2 dst_sel:DWORD dst_unused:UNUSED_PAD src0_sel:WORD_1 src1_sel:DWORD
	v_add_f16_e32 v0, v10, v0
	v_bfi_b32 v12, s22, v11, v10
	v_pack_b32_f16 v1, v37, v36
	v_pack_b32_f16 v0, v0, v2
	s_mov_b32 s4, 0x5040100
	v_pk_add_f16 v3, v12, v3
	ds_write2_b32 v24, v1, v0 offset0:3 offset1:4
	v_perm_b32 v0, v26, v18, s4
	ds_write2_b32 v24, v3, v0 offset0:7 offset1:8
	v_perm_b32 v0, v31, v30, s4
	v_perm_b32 v1, v25, v33, s4
	ds_write2_b32 v24, v1, v0 offset0:9 offset1:10
.LBB0_7:
	s_or_b64 exec, exec, s[2:3]
	s_movk_i32 s2, 0x75
	v_mul_lo_u16_sdwa v0, v27, s2 dst_sel:DWORD dst_unused:UNUSED_PAD src0_sel:BYTE_0 src1_sel:DWORD
	v_sub_u16_sdwa v1, v27, v0 dst_sel:DWORD dst_unused:UNUSED_PAD src0_sel:DWORD src1_sel:BYTE_1
	v_lshrrev_b16_e32 v1, 1, v1
	v_and_b32_e32 v1, 0x7f, v1
	v_add_u16_sdwa v0, v1, v0 dst_sel:DWORD dst_unused:UNUSED_PAD src0_sel:DWORD src1_sel:BYTE_1
	v_lshrrev_b16_e32 v16, 3, v0
	v_mul_lo_u16_e32 v0, 11, v16
	v_sub_u16_e32 v0, v27, v0
	v_and_b32_e32 v19, 0xff, v0
	v_mad_u64_u32 v[4:5], s[2:3], v19, 28, s[14:15]
	s_load_dwordx4 s[8:11], s[0:1], 0x0
	s_waitcnt lgkmcnt(0)
	; wave barrier
	s_waitcnt lgkmcnt(0)
	global_load_dwordx4 v[0:3], v[4:5], off
	global_load_dwordx3 v[12:14], v[4:5], off offset:16
	v_add_u32_e32 v43, 0x200, v28
	v_add_u32_e32 v10, 0x400, v28
	ds_read2_b32 v[4:5], v28 offset1:55
	ds_read2_b32 v[6:7], v28 offset0:110 offset1:165
	ds_read2_b32 v[8:9], v43 offset0:92 offset1:147
	;; [unrolled: 1-line block ×3, first 2 shown]
	s_mov_b32 s0, 0xb9a8
	s_movk_i32 s1, 0x39a8
	s_waitcnt lgkmcnt(3)
	v_lshrrev_b32_e32 v20, 16, v5
	s_waitcnt lgkmcnt(2)
	v_lshrrev_b32_e32 v21, 16, v6
	v_lshrrev_b32_e32 v22, 16, v7
	s_waitcnt lgkmcnt(0)
	v_lshrrev_b32_e32 v32, 16, v10
	v_lshrrev_b32_e32 v34, 16, v11
	;; [unrolled: 1-line block ×5, first 2 shown]
	v_mul_u32_u24_e32 v16, 0x58, v16
	s_waitcnt lgkmcnt(0)
	; wave barrier
	s_waitcnt vmcnt(1)
	v_mul_f16_sdwa v36, v5, v0 dst_sel:DWORD dst_unused:UNUSED_PAD src0_sel:DWORD src1_sel:WORD_1
	v_mul_f16_sdwa v37, v21, v1 dst_sel:DWORD dst_unused:UNUSED_PAD src0_sel:DWORD src1_sel:WORD_1
	;; [unrolled: 1-line block ×4, first 2 shown]
	s_waitcnt vmcnt(0)
	v_mul_f16_sdwa v45, v9, v12 dst_sel:DWORD dst_unused:UNUSED_PAD src0_sel:DWORD src1_sel:WORD_1
	v_mul_f16_sdwa v46, v32, v13 dst_sel:DWORD dst_unused:UNUSED_PAD src0_sel:DWORD src1_sel:WORD_1
	;; [unrolled: 1-line block ×10, first 2 shown]
	v_fma_f16 v20, v20, v0, v36
	v_fma_f16 v6, v6, v1, -v37
	v_fma_f16 v7, v7, v2, -v39
	v_fma_f16 v23, v23, v3, v42
	v_fma_f16 v24, v24, v12, v45
	v_fma_f16 v10, v10, v13, -v46
	v_fma_f16 v11, v11, v14, -v48
	;; [unrolled: 1-line block ×3, first 2 shown]
	v_fma_f16 v21, v21, v1, v38
	v_fma_f16 v22, v22, v2, v40
	v_fma_f16 v9, v9, v12, -v44
	v_fma_f16 v32, v32, v13, v47
	v_fma_f16 v34, v34, v14, v49
	v_sub_f16_e32 v23, v17, v23
	v_sub_f16_e32 v10, v6, v10
	;; [unrolled: 1-line block ×4, first 2 shown]
	v_fma_f16 v8, v8, v3, -v41
	v_sub_f16_e32 v32, v21, v32
	v_sub_f16_e32 v9, v5, v9
	;; [unrolled: 1-line block ×3, first 2 shown]
	v_fma_f16 v6, v6, 2.0, -v10
	v_fma_f16 v7, v7, 2.0, -v11
	v_add_f16_e32 v10, v23, v10
	v_add_f16_e32 v11, v24, v11
	v_sub_f16_e32 v8, v4, v8
	v_fma_f16 v17, v17, 2.0, -v23
	v_fma_f16 v21, v21, 2.0, -v32
	;; [unrolled: 1-line block ×4, first 2 shown]
	v_sub_f16_e32 v35, v9, v34
	v_fma_f16 v34, v23, 2.0, -v10
	v_fma_f16 v23, v24, 2.0, -v11
	v_fma_f16 v4, v4, 2.0, -v8
	v_fma_f16 v5, v5, 2.0, -v9
	v_sub_f16_e32 v32, v8, v32
	v_sub_f16_e32 v21, v17, v21
	;; [unrolled: 1-line block ×3, first 2 shown]
	v_fma_f16 v9, v9, 2.0, -v35
	v_fma_f16 v36, v23, s0, v34
	v_sub_f16_e32 v6, v4, v6
	v_fma_f16 v8, v8, 2.0, -v32
	v_sub_f16_e32 v7, v5, v7
	v_fma_f16 v17, v17, 2.0, -v21
	v_fma_f16 v20, v20, 2.0, -v22
	v_fma_f16 v41, v9, s1, v36
	v_fma_f16 v4, v4, 2.0, -v6
	v_fma_f16 v5, v5, 2.0, -v7
	v_fma_f16 v24, v9, s0, v8
	v_sub_f16_e32 v20, v17, v20
	v_fma_f16 v36, v34, 2.0, -v41
	v_add_f16_e32 v34, v21, v7
	v_sub_f16_e32 v5, v4, v5
	v_fma_f16 v23, v23, s0, v24
	v_fma_f16 v9, v17, 2.0, -v20
	v_fma_f16 v7, v21, 2.0, -v34
	v_fma_f16 v17, v35, s1, v32
	v_fma_f16 v21, v11, s1, v10
	v_fma_f16 v4, v4, 2.0, -v5
	v_fma_f16 v8, v8, 2.0, -v23
	v_sub_f16_e32 v24, v6, v22
	v_fma_f16 v17, v11, s0, v17
	v_fma_f16 v35, v35, s1, v21
	v_fma_f16 v6, v6, 2.0, -v24
	v_fma_f16 v11, v32, 2.0, -v17
	;; [unrolled: 1-line block ×3, first 2 shown]
	v_add_lshl_u32 v32, v16, v19, 2
	v_pack_b32_f16 v4, v4, v9
	v_pack_b32_f16 v8, v8, v36
	ds_write2_b32 v32, v4, v8 offset1:11
	v_pack_b32_f16 v4, v6, v7
	v_pack_b32_f16 v6, v11, v10
	ds_write2_b32 v32, v4, v6 offset0:22 offset1:33
	v_pack_b32_f16 v4, v5, v20
	v_pack_b32_f16 v5, v23, v41
	ds_write2_b32 v32, v4, v5 offset0:44 offset1:55
	;; [unrolled: 3-line block ×3, first 2 shown]
	s_waitcnt lgkmcnt(0)
	; wave barrier
	s_waitcnt lgkmcnt(0)
	ds_read2_b32 v[19:20], v28 offset1:88
	ds_read2_b32 v[21:22], v43 offset0:48 offset1:136
	ds_read_b32 v16, v28 offset:1408
	v_cmp_gt_u16_e64 s[0:1], 33, v27
	s_and_saveexec_b64 s[2:3], s[0:1]
	s_cbranch_execz .LBB0_9
; %bb.8:
	ds_read2_b32 v[23:24], v28 offset0:55 offset1:143
	ds_read2_b32 v[17:18], v43 offset0:103 offset1:191
	ds_read_b32 v33, v28 offset:1628
	s_waitcnt lgkmcnt(2)
	v_lshrrev_b32_e32 v41, 16, v23
	v_lshrrev_b32_e32 v34, 16, v24
	s_waitcnt lgkmcnt(1)
	v_lshrrev_b32_e32 v35, 16, v17
	v_lshrrev_b32_e32 v26, 16, v18
	s_waitcnt lgkmcnt(0)
	v_lshrrev_b32_e32 v25, 16, v33
.LBB0_9:
	s_or_b64 exec, exec, s[2:3]
	v_lshlrev_b32_e32 v4, 4, v27
	global_load_dwordx4 v[8:11], v4, s[14:15] offset:308
	v_add_co_u32_e64 v4, s[2:3], 55, v27
	v_addc_co_u32_e64 v5, s[2:3], 0, 0, s[2:3]
	s_movk_i32 s2, 0xffdf
	v_add_co_u32_e64 v7, s[2:3], s2, v27
	v_addc_co_u32_e64 v36, s[2:3], 0, -1, s[2:3]
	v_cndmask_b32_e64 v5, v36, v5, s[0:1]
	v_cndmask_b32_e64 v4, v7, v4, s[0:1]
	v_lshlrev_b64 v[4:5], 4, v[4:5]
	v_mov_b32_e32 v6, s15
	v_add_co_u32_e64 v4, s[2:3], s14, v4
	v_addc_co_u32_e64 v5, s[2:3], v6, v5, s[2:3]
	global_load_dwordx4 v[4:7], v[4:5], off offset:308
	s_waitcnt lgkmcnt(2)
	v_lshrrev_b32_e32 v37, 16, v20
	s_waitcnt lgkmcnt(1)
	v_lshrrev_b32_e32 v38, 16, v21
	v_lshrrev_b32_e32 v39, 16, v22
	s_waitcnt lgkmcnt(0)
	v_lshrrev_b32_e32 v40, 16, v16
	v_lshrrev_b32_e32 v36, 16, v19
	s_movk_i32 s2, 0x3b9c
	s_mov_b32 s5, 0xbb9c
	s_movk_i32 s3, 0x38b4
	s_mov_b32 s14, 0xb8b4
	s_movk_i32 s4, 0x34f2
	s_waitcnt vmcnt(1)
	v_mul_f16_sdwa v42, v37, v8 dst_sel:DWORD dst_unused:UNUSED_PAD src0_sel:DWORD src1_sel:WORD_1
	v_mul_f16_sdwa v44, v20, v8 dst_sel:DWORD dst_unused:UNUSED_PAD src0_sel:DWORD src1_sel:WORD_1
	;; [unrolled: 1-line block ×8, first 2 shown]
	v_fma_f16 v42, v20, v8, -v42
	v_fma_f16 v37, v37, v8, v44
	v_fma_f16 v21, v21, v9, -v45
	v_fma_f16 v22, v22, v10, -v47
	;; [unrolled: 1-line block ×3, first 2 shown]
	v_fma_f16 v38, v38, v9, v46
	v_fma_f16 v39, v39, v10, v48
	;; [unrolled: 1-line block ×3, first 2 shown]
	v_add_f16_e32 v20, v21, v22
	v_add_f16_e32 v49, v42, v44
	;; [unrolled: 1-line block ×3, first 2 shown]
	v_sub_f16_e32 v45, v37, v40
	v_sub_f16_e32 v46, v38, v39
	;; [unrolled: 1-line block ×6, first 2 shown]
	v_fma_f16 v20, v20, -0.5, v19
	v_fma_f16 v19, v49, -0.5, v19
	v_add_f16_e32 v47, v47, v48
	v_add_f16_e32 v48, v50, v51
	v_fma_f16 v49, v45, s2, v20
	v_fma_f16 v20, v45, s5, v20
	;; [unrolled: 1-line block ×3, first 2 shown]
	s_waitcnt vmcnt(0)
	v_mul_f16_sdwa v51, v34, v4 dst_sel:DWORD dst_unused:UNUSED_PAD src0_sel:DWORD src1_sel:WORD_1
	v_fma_f16 v19, v46, s2, v19
	v_mul_f16_sdwa v52, v24, v4 dst_sel:DWORD dst_unused:UNUSED_PAD src0_sel:DWORD src1_sel:WORD_1
	v_fma_f16 v49, v46, s3, v49
	v_fma_f16 v20, v46, s14, v20
	;; [unrolled: 1-line block ×3, first 2 shown]
	v_fma_f16 v50, v24, v4, -v51
	v_add_f16_e32 v24, v36, v37
	v_add_f16_e32 v24, v24, v38
	v_mul_f16_sdwa v53, v35, v5 dst_sel:DWORD dst_unused:UNUSED_PAD src0_sel:DWORD src1_sel:WORD_1
	v_mul_f16_sdwa v54, v17, v5 dst_sel:DWORD dst_unused:UNUSED_PAD src0_sel:DWORD src1_sel:WORD_1
	;; [unrolled: 1-line block ×4, first 2 shown]
	v_add_f16_e32 v24, v24, v39
	v_mul_f16_sdwa v56, v18, v6 dst_sel:DWORD dst_unused:UNUSED_PAD src0_sel:DWORD src1_sel:WORD_1
	v_mul_f16_sdwa v58, v33, v7 dst_sel:DWORD dst_unused:UNUSED_PAD src0_sel:DWORD src1_sel:WORD_1
	v_fma_f16 v51, v34, v4, v52
	v_fma_f16 v52, v17, v5, -v53
	v_fma_f16 v53, v35, v5, v54
	v_fma_f16 v54, v18, v6, -v55
	v_fma_f16 v55, v33, v7, -v57
	v_add_f16_e32 v33, v24, v40
	v_add_f16_e32 v24, v38, v39
	v_fma_f16 v26, v26, v6, v56
	v_fma_f16 v56, v25, v7, v58
	v_fma_f16 v24, v24, -0.5, v36
	v_sub_f16_e32 v25, v42, v44
	v_add_f16_e32 v16, v16, v21
	v_fma_f16 v34, v25, s5, v24
	v_sub_f16_e32 v21, v21, v22
	v_add_f16_e32 v16, v16, v22
	v_fma_f16 v22, v21, s14, v34
	v_sub_f16_e32 v34, v37, v38
	v_sub_f16_e32 v35, v40, v39
	v_add_f16_e32 v35, v34, v35
	v_fma_f16 v34, v35, s4, v22
	v_fma_f16 v22, v25, s2, v24
	;; [unrolled: 1-line block ×4, first 2 shown]
	v_add_f16_e32 v22, v37, v40
	v_fma_f16 v22, v22, -0.5, v36
	v_fma_f16 v24, v21, s2, v22
	v_sub_f16_e32 v36, v38, v37
	v_sub_f16_e32 v37, v39, v40
	v_fma_f16 v24, v25, s14, v24
	v_add_f16_e32 v37, v36, v37
	v_fma_f16 v21, v21, s5, v22
	v_add_f16_e32 v22, v52, v54
	v_fma_f16 v36, v37, s4, v24
	v_fma_f16 v24, v22, -0.5, v23
	v_sub_f16_e32 v38, v51, v56
	v_fma_f16 v21, v25, s3, v21
	v_fma_f16 v22, v38, s2, v24
	v_sub_f16_e32 v39, v53, v26
	v_sub_f16_e32 v25, v50, v52
	;; [unrolled: 1-line block ×3, first 2 shown]
	v_fma_f16 v24, v38, s5, v24
	v_fma_f16 v22, v39, s3, v22
	v_add_f16_e32 v25, v25, v40
	v_fma_f16 v24, v39, s14, v24
	v_fma_f16 v22, v25, s4, v22
	;; [unrolled: 1-line block ×3, first 2 shown]
	v_add_f16_e32 v24, v50, v55
	v_fma_f16 v24, v24, -0.5, v23
	v_fma_f16 v37, v37, s4, v21
	v_add_f16_e32 v21, v23, v50
	v_fma_f16 v23, v39, s5, v24
	v_sub_f16_e32 v40, v52, v50
	v_sub_f16_e32 v42, v54, v55
	v_fma_f16 v24, v39, s2, v24
	v_fma_f16 v23, v38, s3, v23
	v_add_f16_e32 v40, v40, v42
	v_fma_f16 v24, v38, s14, v24
	v_add_f16_e32 v39, v53, v26
	v_fma_f16 v23, v40, s4, v23
	v_fma_f16 v24, v40, s4, v24
	v_fma_f16 v40, v39, -0.5, v41
	v_sub_f16_e32 v42, v50, v55
	v_add_f16_e32 v16, v16, v44
	v_fma_f16 v18, v48, s4, v46
	v_fma_f16 v19, v45, s14, v19
	;; [unrolled: 1-line block ×3, first 2 shown]
	v_sub_f16_e32 v44, v52, v54
	v_sub_f16_e32 v45, v51, v53
	;; [unrolled: 1-line block ×3, first 2 shown]
	v_fma_f16 v40, v42, s2, v40
	v_fma_f16 v39, v44, s14, v39
	v_add_f16_e32 v45, v45, v46
	v_fma_f16 v40, v44, s3, v40
	v_add_f16_e32 v38, v41, v51
	v_fma_f16 v39, v45, s4, v39
	v_fma_f16 v40, v45, s4, v40
	v_add_f16_e32 v45, v51, v56
	v_add_f16_e32 v38, v38, v53
	v_fma_f16 v45, v45, -0.5, v41
	v_add_f16_e32 v38, v38, v26
	v_fma_f16 v41, v44, s2, v45
	v_sub_f16_e32 v46, v53, v51
	v_sub_f16_e32 v26, v26, v56
	v_fma_f16 v44, v44, s5, v45
	v_fma_f16 v17, v47, s4, v49
	;; [unrolled: 1-line block ×3, first 2 shown]
	v_add_f16_e32 v26, v46, v26
	v_fma_f16 v42, v42, s3, v44
	v_fma_f16 v19, v48, s4, v19
	v_add_f16_e32 v21, v21, v52
	v_fma_f16 v41, v26, s4, v41
	v_fma_f16 v42, v26, s4, v42
	v_pack_b32_f16 v26, v16, v33
	v_pack_b32_f16 v44, v17, v34
	v_fma_f16 v20, v47, s4, v20
	v_add_f16_e32 v21, v21, v54
	ds_write2_b32 v28, v26, v44 offset1:88
	v_pack_b32_f16 v26, v18, v36
	v_pack_b32_f16 v44, v19, v37
	v_add_f16_e32 v21, v21, v55
	v_add_f16_e32 v38, v38, v56
	ds_write2_b32 v43, v26, v44 offset0:48 offset1:136
	v_pack_b32_f16 v26, v20, v35
	ds_write_b32 v28, v26 offset:1408
	s_and_saveexec_b64 s[2:3], s[0:1]
	s_cbranch_execz .LBB0_11
; %bb.10:
	s_mov_b32 s4, 0x5040100
	v_perm_b32 v26, v38, v21, s4
	v_perm_b32 v43, v39, v22, s4
	ds_write2_b32 v28, v26, v43 offset0:55 offset1:143
	v_perm_b32 v26, v41, v23, s4
	v_perm_b32 v43, v42, v24, s4
	v_add_u32_e32 v44, 0x200, v28
	ds_write2_b32 v44, v26, v43 offset0:103 offset1:191
	v_perm_b32 v26, v40, v25, s4
	ds_write_b32 v28, v26 offset:1628
.LBB0_11:
	s_or_b64 exec, exec, s[2:3]
	s_waitcnt lgkmcnt(0)
	; wave barrier
	s_waitcnt lgkmcnt(0)
	s_and_saveexec_b64 s[2:3], vcc
	s_cbranch_execz .LBB0_13
; %bb.12:
	ds_read_b32 v26, v28
	global_load_dword v44, v28, s[6:7] offset:1760
	s_add_u32 s4, s6, 0x6e0
	s_addc_u32 s5, s7, 0
	s_waitcnt lgkmcnt(0)
	v_lshrrev_b32_e32 v43, 16, v26
	s_waitcnt vmcnt(0)
	v_mul_f16_sdwa v45, v43, v44 dst_sel:DWORD dst_unused:UNUSED_PAD src0_sel:DWORD src1_sel:WORD_1
	v_fma_f16 v45, v26, v44, -v45
	v_mul_f16_sdwa v26, v26, v44 dst_sel:DWORD dst_unused:UNUSED_PAD src0_sel:DWORD src1_sel:WORD_1
	v_fma_f16 v26, v43, v44, v26
	v_pack_b32_f16 v26, v45, v26
	global_load_dword v45, v28, s[4:5] offset:160
	ds_write_b32 v28, v26
	ds_read2_b32 v[43:44], v28 offset0:40 offset1:80
	s_waitcnt lgkmcnt(0)
	v_lshrrev_b32_e32 v26, 16, v43
	s_waitcnt vmcnt(0)
	v_mul_f16_sdwa v46, v26, v45 dst_sel:DWORD dst_unused:UNUSED_PAD src0_sel:DWORD src1_sel:WORD_1
	v_fma_f16 v46, v43, v45, -v46
	v_mul_f16_sdwa v43, v43, v45 dst_sel:DWORD dst_unused:UNUSED_PAD src0_sel:DWORD src1_sel:WORD_1
	v_fma_f16 v26, v26, v45, v43
	global_load_dword v45, v28, s[4:5] offset:320
	v_lshrrev_b32_e32 v43, 16, v44
	v_pack_b32_f16 v26, v46, v26
	s_waitcnt vmcnt(0)
	v_mul_f16_sdwa v46, v43, v45 dst_sel:DWORD dst_unused:UNUSED_PAD src0_sel:DWORD src1_sel:WORD_1
	v_fma_f16 v46, v44, v45, -v46
	v_mul_f16_sdwa v44, v44, v45 dst_sel:DWORD dst_unused:UNUSED_PAD src0_sel:DWORD src1_sel:WORD_1
	v_fma_f16 v43, v43, v45, v44
	global_load_dword v45, v28, s[4:5] offset:480
	v_pack_b32_f16 v43, v46, v43
	ds_write2_b32 v28, v26, v43 offset0:40 offset1:80
	ds_read2_b32 v[43:44], v28 offset0:120 offset1:160
	s_waitcnt lgkmcnt(0)
	v_lshrrev_b32_e32 v26, 16, v43
	s_waitcnt vmcnt(0)
	v_mul_f16_sdwa v46, v26, v45 dst_sel:DWORD dst_unused:UNUSED_PAD src0_sel:DWORD src1_sel:WORD_1
	v_fma_f16 v46, v43, v45, -v46
	v_mul_f16_sdwa v43, v43, v45 dst_sel:DWORD dst_unused:UNUSED_PAD src0_sel:DWORD src1_sel:WORD_1
	v_fma_f16 v26, v26, v45, v43
	global_load_dword v45, v28, s[4:5] offset:640
	v_lshrrev_b32_e32 v43, 16, v44
	v_pack_b32_f16 v26, v46, v26
	s_waitcnt vmcnt(0)
	v_mul_f16_sdwa v46, v43, v45 dst_sel:DWORD dst_unused:UNUSED_PAD src0_sel:DWORD src1_sel:WORD_1
	v_fma_f16 v46, v44, v45, -v46
	v_mul_f16_sdwa v44, v44, v45 dst_sel:DWORD dst_unused:UNUSED_PAD src0_sel:DWORD src1_sel:WORD_1
	v_fma_f16 v43, v43, v45, v44
	global_load_dword v45, v28, s[4:5] offset:800
	v_pack_b32_f16 v43, v46, v43
	ds_write2_b32 v28, v26, v43 offset0:120 offset1:160
	ds_read2_b32 v[43:44], v28 offset0:200 offset1:240
	s_waitcnt lgkmcnt(0)
	v_lshrrev_b32_e32 v26, 16, v43
	s_waitcnt vmcnt(0)
	v_mul_f16_sdwa v46, v26, v45 dst_sel:DWORD dst_unused:UNUSED_PAD src0_sel:DWORD src1_sel:WORD_1
	v_fma_f16 v46, v43, v45, -v46
	v_mul_f16_sdwa v43, v43, v45 dst_sel:DWORD dst_unused:UNUSED_PAD src0_sel:DWORD src1_sel:WORD_1
	v_fma_f16 v26, v26, v45, v43
	global_load_dword v45, v28, s[4:5] offset:960
	v_lshrrev_b32_e32 v43, 16, v44
	v_pack_b32_f16 v26, v46, v26
	s_waitcnt vmcnt(0)
	v_mul_f16_sdwa v46, v43, v45 dst_sel:DWORD dst_unused:UNUSED_PAD src0_sel:DWORD src1_sel:WORD_1
	v_fma_f16 v46, v44, v45, -v46
	v_mul_f16_sdwa v44, v44, v45 dst_sel:DWORD dst_unused:UNUSED_PAD src0_sel:DWORD src1_sel:WORD_1
	v_fma_f16 v43, v43, v45, v44
	v_pack_b32_f16 v43, v46, v43
	global_load_dword v46, v28, s[4:5] offset:1120
	ds_write2_b32 v28, v26, v43 offset0:200 offset1:240
	v_add_u32_e32 v26, 0x400, v28
	ds_read2_b32 v[43:44], v26 offset0:24 offset1:64
	s_waitcnt lgkmcnt(0)
	v_lshrrev_b32_e32 v45, 16, v43
	s_waitcnt vmcnt(0)
	v_mul_f16_sdwa v47, v45, v46 dst_sel:DWORD dst_unused:UNUSED_PAD src0_sel:DWORD src1_sel:WORD_1
	v_fma_f16 v47, v43, v46, -v47
	v_mul_f16_sdwa v43, v43, v46 dst_sel:DWORD dst_unused:UNUSED_PAD src0_sel:DWORD src1_sel:WORD_1
	v_fma_f16 v43, v45, v46, v43
	global_load_dword v46, v28, s[4:5] offset:1280
	v_lshrrev_b32_e32 v45, 16, v44
	v_pack_b32_f16 v43, v47, v43
	s_waitcnt vmcnt(0)
	v_mul_f16_sdwa v47, v45, v46 dst_sel:DWORD dst_unused:UNUSED_PAD src0_sel:DWORD src1_sel:WORD_1
	v_fma_f16 v47, v44, v46, -v47
	v_mul_f16_sdwa v44, v44, v46 dst_sel:DWORD dst_unused:UNUSED_PAD src0_sel:DWORD src1_sel:WORD_1
	v_fma_f16 v44, v45, v46, v44
	global_load_dword v46, v28, s[4:5] offset:1440
	v_pack_b32_f16 v44, v47, v44
	ds_write2_b32 v26, v43, v44 offset0:24 offset1:64
	ds_read2_b32 v[43:44], v26 offset0:104 offset1:144
	s_waitcnt lgkmcnt(0)
	v_lshrrev_b32_e32 v45, 16, v43
	s_waitcnt vmcnt(0)
	v_mul_f16_sdwa v47, v45, v46 dst_sel:DWORD dst_unused:UNUSED_PAD src0_sel:DWORD src1_sel:WORD_1
	v_fma_f16 v47, v43, v46, -v47
	v_mul_f16_sdwa v43, v43, v46 dst_sel:DWORD dst_unused:UNUSED_PAD src0_sel:DWORD src1_sel:WORD_1
	v_fma_f16 v43, v45, v46, v43
	global_load_dword v46, v28, s[4:5] offset:1600
	v_lshrrev_b32_e32 v45, 16, v44
	v_pack_b32_f16 v43, v47, v43
	s_waitcnt vmcnt(0)
	v_mul_f16_sdwa v47, v45, v46 dst_sel:DWORD dst_unused:UNUSED_PAD src0_sel:DWORD src1_sel:WORD_1
	v_fma_f16 v47, v44, v46, -v47
	v_mul_f16_sdwa v44, v44, v46 dst_sel:DWORD dst_unused:UNUSED_PAD src0_sel:DWORD src1_sel:WORD_1
	v_fma_f16 v44, v45, v46, v44
	v_pack_b32_f16 v44, v47, v44
	ds_write2_b32 v26, v43, v44 offset0:104 offset1:144
.LBB0_13:
	s_or_b64 exec, exec, s[2:3]
	s_waitcnt lgkmcnt(0)
	; wave barrier
	s_waitcnt lgkmcnt(0)
	s_and_saveexec_b64 s[2:3], vcc
	s_cbranch_execz .LBB0_15
; %bb.14:
	v_add_u32_e32 v22, 0x200, v28
	v_add_u32_e32 v24, 0x400, v28
	ds_read2_b32 v[16:17], v28 offset1:40
	ds_read2_b32 v[18:19], v28 offset0:80 offset1:120
	ds_read2_b32 v[20:21], v28 offset0:160 offset1:200
	;; [unrolled: 1-line block ×4, first 2 shown]
	ds_read_b32 v30, v28 offset:1600
	s_waitcnt lgkmcnt(5)
	v_lshrrev_b32_e32 v33, 16, v16
	v_lshrrev_b32_e32 v34, 16, v17
	s_waitcnt lgkmcnt(4)
	v_lshrrev_b32_e32 v36, 16, v18
	v_lshrrev_b32_e32 v37, 16, v19
	;; [unrolled: 3-line block ×5, first 2 shown]
	s_waitcnt lgkmcnt(0)
	v_lshrrev_b32_e32 v31, 16, v30
.LBB0_15:
	s_or_b64 exec, exec, s[2:3]
	v_sub_f16_e32 v51, v34, v31
	v_add_f16_e32 v46, v30, v17
	v_add_f16_e32 v54, v31, v34
	s_movk_i32 s4, 0x36a6
	v_mul_f16_e32 v58, 0xbb47, v51
	v_sub_f16_e32 v56, v36, v40
	v_sub_f16_e32 v47, v17, v30
	s_mov_b32 s14, 0xbb47
	v_mul_f16_e32 v62, 0x36a6, v54
	v_fma_f16 v26, v46, s4, -v58
	v_add_f16_e32 v48, v25, v18
	v_add_f16_e32 v59, v40, v36
	s_mov_b32 s15, 0xb93d
	v_mul_f16_e32 v63, 0xba0c, v56
	v_add_f16_e32 v26, v16, v26
	v_fma_f16 v43, v47, s14, v62
	s_mov_b32 s5, 0xb08e
	v_mul_f16_e32 v66, 0xbbeb, v51
	v_sub_f16_e32 v49, v18, v25
	v_mul_f16_e32 v67, 0xb93d, v59
	v_fma_f16 v50, v48, s15, -v63
	v_add_f16_e32 v43, v33, v43
	s_mov_b32 s16, 0xbbeb
	v_mul_f16_e32 v71, 0xb08e, v54
	v_fma_f16 v44, v46, s5, -v66
	v_add_f16_e32 v26, v50, v26
	v_fma_f16 v50, v49, s18, v67
	s_mov_b32 s17, 0xbbad
	v_mul_f16_e32 v73, 0x3482, v56
	v_add_f16_e32 v44, v16, v44
	v_fma_f16 v45, v47, s16, v71
	v_add_f16_e32 v43, v50, v43
	s_movk_i32 s21, 0x3482
	v_mul_f16_e32 v76, 0xbbad, v59
	v_fma_f16 v50, v48, s17, -v73
	v_add_f16_e32 v45, v33, v45
	v_add_f16_e32 v44, v50, v44
	v_fma_f16 v50, v49, s21, v76
	v_sub_f16_e32 v61, v37, v42
	v_add_f16_e32 v45, v50, v45
	v_add_f16_e32 v50, v24, v19
	;; [unrolled: 1-line block ×3, first 2 shown]
	v_mul_f16_e32 v69, 0x3482, v61
	v_sub_f16_e32 v52, v19, v24
	v_mul_f16_e32 v72, 0xbbad, v64
	v_fma_f16 v53, v50, s17, -v69
	v_add_f16_e32 v26, v53, v26
	v_fma_f16 v53, v52, s21, v72
	v_mul_f16_e32 v77, 0x3b47, v61
	v_add_f16_e32 v43, v53, v43
	s_movk_i32 s22, 0x3b47
	v_mul_f16_e32 v80, 0x36a6, v64
	v_fma_f16 v53, v50, s4, -v77
	v_add_f16_e32 v44, v53, v44
	v_fma_f16 v53, v52, s22, v80
	v_sub_f16_e32 v65, v35, v41
	v_add_f16_e32 v45, v53, v45
	v_add_f16_e32 v53, v23, v20
	;; [unrolled: 1-line block ×3, first 2 shown]
	v_mul_f16_e32 v75, 0x3beb, v65
	v_sub_f16_e32 v55, v20, v23
	s_movk_i32 s23, 0x3beb
	v_mul_f16_e32 v78, 0xb08e, v68
	v_fma_f16 v57, v53, s5, -v75
	v_add_f16_e32 v26, v57, v26
	v_fma_f16 v57, v55, s23, v78
	s_movk_i32 s19, 0x3abb
	v_mul_f16_e32 v81, 0xb853, v65
	v_add_f16_e32 v84, v57, v43
	s_mov_b32 s20, 0xb853
	v_mul_f16_e32 v83, 0x3abb, v68
	v_fma_f16 v43, v53, s19, -v81
	v_sub_f16_e32 v70, v38, v39
	v_add_f16_e32 v44, v43, v44
	v_fma_f16 v43, v55, s20, v83
	v_add_f16_e32 v57, v22, v21
	v_add_f16_e32 v74, v39, v38
	v_mul_f16_e32 v79, 0x3853, v70
	v_add_f16_e32 v86, v43, v45
	v_sub_f16_e32 v60, v21, v22
	s_movk_i32 s24, 0x3853
	v_mul_f16_e32 v82, 0x3abb, v74
	v_fma_f16 v43, v57, s19, -v79
	v_add_f16_e32 v43, v43, v26
	v_fma_f16 v26, v60, s24, v82
	v_add_f16_e32 v45, v26, v84
	v_mul_f16_e32 v84, 0xba0c, v70
	v_mul_f16_e32 v85, 0xb93d, v74
	v_fma_f16 v26, v57, s15, -v84
	v_add_f16_e32 v26, v26, v44
	v_fma_f16 v44, v60, s18, v85
	v_add_f16_e32 v44, v44, v86
	s_waitcnt lgkmcnt(0)
	; wave barrier
	s_and_saveexec_b64 s[2:3], vcc
	s_cbranch_execz .LBB0_17
; %bb.16:
	v_mul_f16_e32 v106, 0xba0c, v47
	v_fma_f16 v107, v54, s15, v106
	v_mul_f16_e32 v108, 0x3beb, v49
	v_add_f16_e32 v107, v33, v107
	v_fma_f16 v109, v59, s5, v108
	v_add_f16_e32 v107, v109, v107
	v_mul_f16_e32 v109, 0xb853, v52
	v_fma_f16 v110, v64, s19, v109
	v_add_f16_e32 v107, v110, v107
	v_mul_f16_e32 v110, 0xb482, v55
	;; [unrolled: 3-line block ×4, first 2 shown]
	v_fma_f16 v113, v46, s15, -v112
	v_mul_f16_e32 v114, 0x3beb, v56
	v_add_f16_e32 v113, v16, v113
	v_fma_f16 v115, v48, s5, -v114
	v_add_f16_e32 v113, v115, v113
	v_mul_f16_e32 v115, 0xb853, v61
	v_fma_f16 v116, v50, s19, -v115
	v_add_f16_e32 v113, v116, v113
	v_mul_f16_e32 v116, 0xb482, v65
	;; [unrolled: 3-line block ×3, first 2 shown]
	v_fma_f16 v118, v57, s4, -v117
	v_mul_f16_e32 v86, 0x36a6, v46
	v_add_f16_e32 v113, v118, v113
	v_mul_f16_e32 v118, 0xb482, v47
	v_mul_f16_e32 v87, 0xbb47, v47
	;; [unrolled: 1-line block ×3, first 2 shown]
	v_fma_f16 v119, v54, s17, v118
	v_mul_f16_e32 v120, 0x3853, v49
	v_add_f16_e32 v58, v86, v58
	v_mul_f16_e32 v91, 0xba0c, v49
	v_mul_f16_e32 v94, 0xbbad, v50
	v_add_f16_e32 v119, v33, v119
	v_fma_f16 v121, v59, s19, v120
	v_sub_f16_e32 v62, v62, v87
	v_add_f16_e32 v58, v16, v58
	v_add_f16_e32 v63, v90, v63
	v_mul_f16_e32 v95, 0x3482, v52
	v_mul_f16_e32 v98, 0xb08e, v53
	v_add_f16_e32 v119, v121, v119
	v_mul_f16_e32 v121, 0xba0c, v52
	v_add_f16_e32 v62, v33, v62
	v_sub_f16_e32 v67, v67, v91
	v_add_f16_e32 v58, v63, v58
	v_add_f16_e32 v63, v94, v69
	v_mul_f16_e32 v99, 0x3beb, v55
	v_mul_f16_e32 v102, 0x3abb, v57
	v_fma_f16 v122, v64, s15, v121
	v_add_f16_e32 v62, v67, v62
	v_sub_f16_e32 v67, v72, v95
	v_add_f16_e32 v58, v63, v58
	v_add_f16_e32 v63, v98, v75
	v_mul_f16_e32 v103, 0x3853, v60
	v_add_f16_e32 v119, v122, v119
	v_mul_f16_e32 v122, 0x3b47, v55
	v_fma_f16 v118, v54, s17, -v118
	v_fma_f16 v106, v54, s15, -v106
	v_add_f16_e32 v62, v67, v62
	v_sub_f16_e32 v67, v78, v99
	v_add_f16_e32 v58, v63, v58
	v_add_f16_e32 v63, v102, v79
	v_mul_f16_e32 v54, 0x3abb, v54
	v_fma_f16 v123, v68, s4, v122
	v_add_f16_e32 v118, v33, v118
	v_fma_f16 v120, v59, s19, -v120
	v_add_f16_e32 v106, v33, v106
	v_fma_f16 v108, v59, s5, -v108
	v_add_f16_e32 v62, v67, v62
	v_sub_f16_e32 v67, v82, v103
	v_add_f16_e32 v58, v63, v58
	v_fma_f16 v63, v47, s24, v54
	v_mul_f16_e32 v59, 0x36a6, v59
	v_add_f16_e32 v119, v123, v119
	v_mul_f16_e32 v123, 0xbbeb, v60
	v_add_f16_e32 v118, v120, v118
	v_fma_f16 v120, v64, s15, -v121
	v_add_f16_e32 v106, v108, v106
	v_fma_f16 v108, v64, s19, -v109
	v_add_f16_e32 v62, v67, v62
	v_add_f16_e32 v63, v33, v63
	v_fma_f16 v67, v49, s22, v59
	v_mul_f16_e32 v64, 0xb08e, v64
	v_add_f16_e32 v17, v17, v16
	v_fma_f16 v124, v74, s5, v123
	v_add_f16_e32 v63, v67, v63
	v_fma_f16 v67, v52, s23, v64
	v_add_f16_e32 v17, v18, v17
	v_add_f16_e32 v119, v124, v119
	v_mul_f16_e32 v124, 0xb482, v51
	v_add_f16_e32 v63, v67, v63
	v_mul_f16_e32 v67, 0xb93d, v68
	s_movk_i32 s22, 0x3a0c
	v_add_f16_e32 v17, v19, v17
	v_add_f16_e32 v18, v34, v33
	v_fma_f16 v19, v47, s20, v54
	v_fma_f16 v125, v46, s17, -v124
	v_mul_f16_e32 v126, 0x3853, v56
	v_add_f16_e32 v118, v120, v118
	v_fma_f16 v120, v68, s4, -v122
	v_add_f16_e32 v106, v108, v106
	v_fma_f16 v108, v68, s17, -v110
	v_fma_f16 v68, v55, s22, v67
	v_add_f16_e32 v17, v20, v17
	v_add_f16_e32 v18, v36, v18
	;; [unrolled: 1-line block ×3, first 2 shown]
	v_fma_f16 v20, v49, s14, v59
	v_add_f16_e32 v125, v16, v125
	v_fma_f16 v127, v48, s19, -v126
	v_add_f16_e32 v63, v68, v63
	v_mul_f16_e32 v68, 0xbbad, v74
	v_add_f16_e32 v18, v37, v18
	v_add_f16_e32 v19, v20, v19
	v_fma_f16 v20, v52, s16, v64
	s_mov_b32 s25, 0xb482
	v_add_f16_e32 v125, v127, v125
	v_mul_f16_e32 v127, 0xba0c, v61
	v_fma_f16 v69, v60, s21, v68
	v_mul_f16_e32 v51, 0xb853, v51
	v_add_f16_e32 v18, v35, v18
	v_add_f16_e32 v19, v20, v19
	v_fma_f16 v20, v55, s18, v67
	v_mul_f16_e32 v88, 0xb08e, v46
	v_mul_f16_e32 v89, 0xbbeb, v47
	v_fma_f16 v128, v50, s15, -v127
	v_add_f16_e32 v118, v120, v118
	v_fma_f16 v120, v74, s5, -v123
	v_add_f16_e32 v106, v108, v106
	;; [unrolled: 2-line block ×3, first 2 shown]
	v_fma_f16 v69, v46, s19, v51
	v_mul_f16_e32 v56, 0xbb47, v56
	v_add_f16_e32 v17, v21, v17
	v_add_f16_e32 v18, v38, v18
	;; [unrolled: 1-line block ×3, first 2 shown]
	v_fma_f16 v20, v60, s25, v68
	v_mul_f16_e32 v92, 0xbbad, v48
	v_mul_f16_e32 v93, 0x3482, v49
	v_add_f16_e32 v125, v128, v125
	v_mul_f16_e32 v128, 0x3b47, v65
	v_add_f16_e32 v118, v120, v118
	v_fma_f16 v120, v46, s17, v124
	v_add_f16_e32 v106, v108, v106
	v_fma_f16 v108, v46, s15, v112
	v_sub_f16_e32 v71, v71, v89
	v_add_f16_e32 v66, v88, v66
	v_add_f16_e32 v69, v16, v69
	v_fma_f16 v72, v48, s4, v56
	v_mul_f16_e32 v61, 0xbbeb, v61
	v_add_f16_e32 v17, v22, v17
	v_add_f16_e32 v18, v39, v18
	;; [unrolled: 1-line block ×3, first 2 shown]
	v_fma_f16 v20, v46, s19, -v51
	v_mul_f16_e32 v96, 0x36a6, v50
	v_mul_f16_e32 v97, 0x3b47, v52
	v_fma_f16 v129, v53, s4, -v128
	v_add_f16_e32 v120, v16, v120
	v_add_f16_e32 v108, v16, v108
	;; [unrolled: 1-line block ×3, first 2 shown]
	v_sub_f16_e32 v76, v76, v93
	v_add_f16_e32 v66, v16, v66
	v_add_f16_e32 v73, v92, v73
	;; [unrolled: 1-line block ×3, first 2 shown]
	v_fma_f16 v72, v50, s5, v61
	v_mul_f16_e32 v65, 0xba0c, v65
	v_add_f16_e32 v17, v23, v17
	v_add_f16_e32 v18, v41, v18
	;; [unrolled: 1-line block ×3, first 2 shown]
	v_fma_f16 v20, v48, s4, -v56
	v_mul_f16_e32 v100, 0x3abb, v53
	v_mul_f16_e32 v101, 0xb853, v55
	v_add_f16_e32 v125, v129, v125
	v_mul_f16_e32 v129, 0xbbeb, v70
	v_fma_f16 v121, v48, s19, v126
	v_fma_f16 v109, v48, s5, v114
	v_add_f16_e32 v71, v76, v71
	v_sub_f16_e32 v76, v80, v97
	v_add_f16_e32 v66, v73, v66
	v_add_f16_e32 v73, v96, v77
	;; [unrolled: 1-line block ×3, first 2 shown]
	v_fma_f16 v72, v53, s15, v65
	v_mul_f16_e32 v70, 0xb482, v70
	v_add_f16_e32 v17, v24, v17
	v_add_f16_e32 v18, v42, v18
	;; [unrolled: 1-line block ×3, first 2 shown]
	v_fma_f16 v20, v50, s5, -v61
	v_mul_f16_e32 v104, 0xb93d, v57
	v_mul_f16_e32 v105, 0xba0c, v60
	v_add_f16_e32 v120, v121, v120
	v_fma_f16 v121, v50, s15, v127
	v_add_f16_e32 v108, v109, v108
	v_fma_f16 v109, v50, s19, v115
	v_add_f16_e32 v71, v76, v71
	v_sub_f16_e32 v76, v83, v101
	v_add_f16_e32 v66, v73, v66
	v_add_f16_e32 v73, v100, v81
	;; [unrolled: 1-line block ×3, first 2 shown]
	v_fma_f16 v72, v57, s17, v70
	v_add_f16_e32 v17, v25, v17
	v_add_f16_e32 v18, v40, v18
	;; [unrolled: 1-line block ×3, first 2 shown]
	v_fma_f16 v20, v53, s15, -v65
	v_add_f16_e32 v120, v121, v120
	v_fma_f16 v121, v53, s4, v128
	v_add_f16_e32 v108, v109, v108
	v_fma_f16 v109, v53, s17, v116
	v_add_f16_e32 v71, v76, v71
	v_sub_f16_e32 v76, v85, v105
	v_add_f16_e32 v66, v73, v66
	v_add_f16_e32 v73, v104, v84
	;; [unrolled: 1-line block ×6, first 2 shown]
	v_fma_f16 v20, v57, s17, -v70
	v_add_f16_e32 v120, v121, v120
	v_fma_f16 v121, v57, s5, v129
	v_add_f16_e32 v108, v109, v108
	v_fma_f16 v109, v57, s4, v117
	v_add_f16_e32 v71, v76, v71
	v_add_f16_e32 v66, v73, v66
	v_add_f16_e32 v16, v20, v16
	v_lshlrev_b32_e32 v20, 2, v29
	v_pack_b32_f16 v21, v69, v63
	v_pack_b32_f16 v17, v17, v18
	v_fma_f16 v130, v57, s5, -v129
	v_add_f16_e32 v120, v121, v120
	v_add_f16_e32 v108, v109, v108
	ds_write2_b32 v20, v17, v21 offset1:1
	v_pack_b32_f16 v17, v66, v71
	v_pack_b32_f16 v18, v58, v62
	v_add_f16_e32 v125, v130, v125
	ds_write2_b32 v20, v18, v17 offset0:2 offset1:3
	v_pack_b32_f16 v17, v120, v118
	v_pack_b32_f16 v18, v108, v106
	ds_write2_b32 v20, v18, v17 offset0:4 offset1:5
	v_pack_b32_f16 v17, v113, v107
	v_pack_b32_f16 v18, v125, v119
	s_mov_b32 s4, 0x5040100
	ds_write2_b32 v20, v18, v17 offset0:6 offset1:7
	v_perm_b32 v17, v45, v43, s4
	v_perm_b32 v18, v44, v26, s4
	v_pack_b32_f16 v16, v16, v19
	ds_write2_b32 v20, v18, v17 offset0:8 offset1:9
	ds_write_b32 v20, v16 offset:40
.LBB0_17:
	s_or_b64 exec, exec, s[2:3]
	s_waitcnt lgkmcnt(0)
	; wave barrier
	s_waitcnt lgkmcnt(0)
	ds_read2_b32 v[17:18], v28 offset1:55
	ds_read2_b32 v[19:20], v28 offset0:110 offset1:165
	v_add_u32_e32 v16, 0x200, v28
	ds_read2_b32 v[21:22], v16 offset0:92 offset1:147
	v_add_u32_e32 v23, 0x400, v28
	s_waitcnt lgkmcnt(2)
	v_lshrrev_b32_e32 v29, 16, v18
	v_mul_f16_sdwa v37, v0, v29 dst_sel:DWORD dst_unused:UNUSED_PAD src0_sel:WORD_1 src1_sel:DWORD
	s_waitcnt lgkmcnt(1)
	v_lshrrev_b32_e32 v30, 16, v19
	v_fma_f16 v37, v0, v18, v37
	v_mul_f16_sdwa v18, v0, v18 dst_sel:DWORD dst_unused:UNUSED_PAD src0_sel:WORD_1 src1_sel:DWORD
	v_fma_f16 v0, v0, v29, -v18
	v_mul_f16_sdwa v18, v1, v30 dst_sel:DWORD dst_unused:UNUSED_PAD src0_sel:WORD_1 src1_sel:DWORD
	v_lshrrev_b32_e32 v31, 16, v20
	v_fma_f16 v18, v1, v19, v18
	v_mul_f16_sdwa v19, v1, v19 dst_sel:DWORD dst_unused:UNUSED_PAD src0_sel:WORD_1 src1_sel:DWORD
	ds_read2_b32 v[23:24], v23 offset0:74 offset1:129
	v_fma_f16 v1, v1, v30, -v19
	v_mul_f16_sdwa v19, v2, v31 dst_sel:DWORD dst_unused:UNUSED_PAD src0_sel:WORD_1 src1_sel:DWORD
	s_waitcnt lgkmcnt(1)
	v_lshrrev_b32_e32 v33, 16, v21
	v_fma_f16 v19, v2, v20, v19
	v_mul_f16_sdwa v20, v2, v20 dst_sel:DWORD dst_unused:UNUSED_PAD src0_sel:WORD_1 src1_sel:DWORD
	v_fma_f16 v2, v2, v31, -v20
	v_mul_f16_sdwa v20, v3, v33 dst_sel:DWORD dst_unused:UNUSED_PAD src0_sel:WORD_1 src1_sel:DWORD
	v_lshrrev_b32_e32 v34, 16, v22
	v_fma_f16 v20, v3, v21, v20
	v_mul_f16_sdwa v21, v3, v21 dst_sel:DWORD dst_unused:UNUSED_PAD src0_sel:WORD_1 src1_sel:DWORD
	v_fma_f16 v3, v3, v33, -v21
	v_mul_f16_sdwa v21, v12, v34 dst_sel:DWORD dst_unused:UNUSED_PAD src0_sel:WORD_1 src1_sel:DWORD
	s_waitcnt lgkmcnt(0)
	v_lshrrev_b32_e32 v35, 16, v23
	v_fma_f16 v21, v12, v22, v21
	v_mul_f16_sdwa v22, v12, v22 dst_sel:DWORD dst_unused:UNUSED_PAD src0_sel:WORD_1 src1_sel:DWORD
	v_fma_f16 v12, v12, v34, -v22
	v_mul_f16_sdwa v22, v13, v35 dst_sel:DWORD dst_unused:UNUSED_PAD src0_sel:WORD_1 src1_sel:DWORD
	v_lshrrev_b32_e32 v36, 16, v24
	v_fma_f16 v22, v13, v23, v22
	v_mul_f16_sdwa v23, v13, v23 dst_sel:DWORD dst_unused:UNUSED_PAD src0_sel:WORD_1 src1_sel:DWORD
	v_fma_f16 v13, v13, v35, -v23
	v_mul_f16_sdwa v23, v14, v36 dst_sel:DWORD dst_unused:UNUSED_PAD src0_sel:WORD_1 src1_sel:DWORD
	v_lshrrev_b32_e32 v25, 16, v17
	v_fma_f16 v23, v14, v24, v23
	v_mul_f16_sdwa v24, v14, v24 dst_sel:DWORD dst_unused:UNUSED_PAD src0_sel:WORD_1 src1_sel:DWORD
	v_sub_f16_e32 v20, v17, v20
	v_sub_f16_e32 v3, v25, v3
	;; [unrolled: 1-line block ×5, first 2 shown]
	v_fma_f16 v14, v14, v36, -v24
	v_fma_f16 v17, v17, 2.0, -v20
	v_fma_f16 v24, v25, 2.0, -v3
	v_sub_f16_e32 v13, v1, v13
	v_fma_f16 v18, v18, 2.0, -v22
	v_fma_f16 v25, v37, 2.0, -v21
	;; [unrolled: 1-line block ×4, first 2 shown]
	v_sub_f16_e32 v12, v0, v12
	v_sub_f16_e32 v14, v2, v14
	;; [unrolled: 1-line block ×3, first 2 shown]
	v_add_f16_e32 v13, v20, v13
	v_sub_f16_e32 v19, v25, v19
	v_fma_f16 v0, v0, 2.0, -v12
	v_fma_f16 v2, v2, 2.0, -v14
	v_sub_f16_e32 v30, v24, v1
	v_fma_f16 v1, v17, 2.0, -v29
	v_sub_f16_e32 v22, v3, v22
	v_fma_f16 v18, v20, 2.0, -v13
	v_fma_f16 v20, v25, 2.0, -v19
	v_sub_f16_e32 v23, v12, v23
	v_fma_f16 v17, v24, 2.0, -v30
	v_fma_f16 v3, v3, 2.0, -v22
	v_sub_f16_e32 v2, v0, v2
	v_add_f16_e32 v24, v21, v14
	v_fma_f16 v12, v12, 2.0, -v23
	v_sub_f16_e32 v20, v1, v20
	s_mov_b32 s2, 0xb9a8
	v_fma_f16 v0, v0, 2.0, -v2
	v_fma_f16 v14, v21, 2.0, -v24
	;; [unrolled: 1-line block ×3, first 2 shown]
	v_fma_f16 v1, v12, s2, v3
	v_sub_f16_e32 v21, v17, v0
	v_fma_f16 v0, v14, s2, v18
	s_movk_i32 s3, 0x39a8
	v_fma_f16 v14, v14, s2, v1
	v_add_f16_e32 v1, v29, v2
	v_fma_f16 v33, v17, 2.0, -v21
	v_fma_f16 v0, v12, s3, v0
	v_fma_f16 v2, v29, 2.0, -v1
	v_fma_f16 v17, v24, s3, v13
	v_fma_f16 v29, v23, s3, v22
	v_fma_f16 v12, v18, 2.0, -v0
	v_fma_f16 v3, v3, 2.0, -v14
	v_sub_f16_e32 v18, v30, v19
	v_fma_f16 v25, v23, s3, v17
	v_fma_f16 v17, v24, s2, v29
	v_fma_f16 v19, v30, 2.0, -v18
	v_fma_f16 v13, v13, 2.0, -v25
	v_fma_f16 v22, v22, 2.0, -v17
	v_pack_b32_f16 v23, v31, v33
	v_pack_b32_f16 v3, v12, v3
	s_waitcnt lgkmcnt(0)
	; wave barrier
	ds_write2_b32 v32, v23, v3 offset1:11
	v_pack_b32_f16 v2, v2, v19
	v_pack_b32_f16 v3, v13, v22
	ds_write2_b32 v32, v2, v3 offset0:22 offset1:33
	v_pack_b32_f16 v2, v20, v21
	v_pack_b32_f16 v3, v0, v14
	ds_write2_b32 v32, v2, v3 offset0:44 offset1:55
	;; [unrolled: 3-line block ×3, first 2 shown]
	s_waitcnt lgkmcnt(0)
	; wave barrier
	s_waitcnt lgkmcnt(0)
	ds_read2_b32 v[2:3], v28 offset1:88
	ds_read2_b32 v[12:13], v16 offset0:48 offset1:136
	ds_read_b32 v19, v28 offset:1408
	s_and_saveexec_b64 s[2:3], s[0:1]
	s_cbranch_execz .LBB0_19
; %bb.18:
	ds_read2_b32 v[0:1], v28 offset0:55 offset1:143
	ds_read2_b32 v[25:26], v16 offset0:103 offset1:191
	ds_read_b32 v43, v28 offset:1628
	s_waitcnt lgkmcnt(2)
	v_lshrrev_b32_e32 v14, 16, v0
	v_lshrrev_b32_e32 v18, 16, v1
	s_waitcnt lgkmcnt(1)
	v_lshrrev_b32_e32 v17, 16, v25
	v_lshrrev_b32_e32 v44, 16, v26
	s_waitcnt lgkmcnt(0)
	v_lshrrev_b32_e32 v45, 16, v43
.LBB0_19:
	s_or_b64 exec, exec, s[2:3]
	s_waitcnt lgkmcnt(2)
	v_lshrrev_b32_e32 v21, 16, v3
	v_mul_f16_sdwa v29, v8, v21 dst_sel:DWORD dst_unused:UNUSED_PAD src0_sel:WORD_1 src1_sel:DWORD
	s_waitcnt lgkmcnt(1)
	v_lshrrev_b32_e32 v22, 16, v12
	v_fma_f16 v29, v8, v3, v29
	v_mul_f16_sdwa v3, v8, v3 dst_sel:DWORD dst_unused:UNUSED_PAD src0_sel:WORD_1 src1_sel:DWORD
	v_fma_f16 v3, v8, v21, -v3
	v_mul_f16_sdwa v8, v9, v22 dst_sel:DWORD dst_unused:UNUSED_PAD src0_sel:WORD_1 src1_sel:DWORD
	v_lshrrev_b32_e32 v23, 16, v13
	v_fma_f16 v8, v9, v12, v8
	v_mul_f16_sdwa v12, v9, v12 dst_sel:DWORD dst_unused:UNUSED_PAD src0_sel:WORD_1 src1_sel:DWORD
	v_fma_f16 v9, v9, v22, -v12
	v_mul_f16_sdwa v12, v10, v23 dst_sel:DWORD dst_unused:UNUSED_PAD src0_sel:WORD_1 src1_sel:DWORD
	s_waitcnt lgkmcnt(0)
	v_lshrrev_b32_e32 v24, 16, v19
	v_fma_f16 v12, v10, v13, v12
	v_mul_f16_sdwa v13, v10, v13 dst_sel:DWORD dst_unused:UNUSED_PAD src0_sel:WORD_1 src1_sel:DWORD
	v_fma_f16 v10, v10, v23, -v13
	v_mul_f16_sdwa v13, v11, v24 dst_sel:DWORD dst_unused:UNUSED_PAD src0_sel:WORD_1 src1_sel:DWORD
	v_fma_f16 v13, v11, v19, v13
	v_mul_f16_sdwa v19, v11, v19 dst_sel:DWORD dst_unused:UNUSED_PAD src0_sel:WORD_1 src1_sel:DWORD
	v_fma_f16 v11, v11, v24, -v19
	v_add_f16_e32 v21, v8, v12
	v_fma_f16 v21, v21, -0.5, v2
	v_sub_f16_e32 v22, v3, v11
	s_mov_b32 s4, 0xbb9c
	s_movk_i32 s15, 0x3b9c
	v_fma_f16 v23, v22, s4, v21
	v_sub_f16_e32 v24, v9, v10
	s_mov_b32 s14, 0xb8b4
	v_sub_f16_e32 v30, v29, v8
	v_sub_f16_e32 v31, v13, v12
	v_fma_f16 v21, v22, s15, v21
	s_movk_i32 s16, 0x38b4
	v_fma_f16 v23, v24, s14, v23
	v_add_f16_e32 v30, v30, v31
	s_movk_i32 s5, 0x34f2
	v_fma_f16 v21, v24, s16, v21
	v_add_f16_e32 v19, v2, v29
	v_fma_f16 v23, v30, s5, v23
	v_fma_f16 v21, v30, s5, v21
	v_add_f16_e32 v30, v29, v13
	v_lshrrev_b32_e32 v20, 16, v2
	v_add_f16_e32 v19, v19, v8
	v_fma_f16 v2, v30, -0.5, v2
	v_add_f16_e32 v19, v19, v12
	v_fma_f16 v30, v24, s15, v2
	v_fma_f16 v2, v24, s4, v2
	v_add_f16_e32 v24, v9, v10
	v_add_f16_e32 v19, v19, v13
	v_sub_f16_e32 v31, v8, v29
	v_sub_f16_e32 v32, v12, v13
	v_fma_f16 v24, v24, -0.5, v20
	v_sub_f16_e32 v13, v29, v13
	v_fma_f16 v30, v22, s14, v30
	v_add_f16_e32 v31, v31, v32
	v_fma_f16 v2, v22, s16, v2
	v_fma_f16 v29, v13, s15, v24
	v_sub_f16_e32 v8, v8, v12
	v_fma_f16 v30, v31, s5, v30
	v_fma_f16 v2, v31, s5, v2
	;; [unrolled: 1-line block ×3, first 2 shown]
	v_sub_f16_e32 v29, v3, v9
	v_sub_f16_e32 v31, v11, v10
	v_fma_f16 v24, v13, s4, v24
	v_add_f16_e32 v29, v29, v31
	v_fma_f16 v24, v8, s14, v24
	v_add_f16_e32 v22, v20, v3
	v_fma_f16 v12, v29, s5, v12
	v_fma_f16 v24, v29, s5, v24
	v_add_f16_e32 v29, v3, v11
	v_add_f16_e32 v22, v22, v9
	v_fma_f16 v20, v29, -0.5, v20
	v_add_f16_e32 v22, v22, v10
	v_fma_f16 v29, v8, s4, v20
	v_sub_f16_e32 v3, v9, v3
	v_sub_f16_e32 v9, v10, v11
	v_fma_f16 v8, v8, s15, v20
	v_add_f16_e32 v22, v22, v11
	v_fma_f16 v29, v13, s16, v29
	v_add_f16_e32 v3, v3, v9
	v_fma_f16 v8, v13, s14, v8
	v_fma_f16 v9, v3, s5, v29
	;; [unrolled: 1-line block ×3, first 2 shown]
	v_pack_b32_f16 v8, v19, v22
	v_pack_b32_f16 v10, v23, v12
	ds_write2_b32 v28, v8, v10 offset1:88
	v_pack_b32_f16 v8, v30, v9
	v_pack_b32_f16 v2, v2, v3
	ds_write2_b32 v16, v8, v2 offset0:48 offset1:136
	v_pack_b32_f16 v2, v21, v24
	ds_write_b32 v28, v2 offset:1408
	s_and_saveexec_b64 s[2:3], s[0:1]
	s_cbranch_execz .LBB0_21
; %bb.20:
	v_mul_f16_sdwa v2, v5, v25 dst_sel:DWORD dst_unused:UNUSED_PAD src0_sel:WORD_1 src1_sel:DWORD
	v_mul_f16_sdwa v3, v4, v1 dst_sel:DWORD dst_unused:UNUSED_PAD src0_sel:WORD_1 src1_sel:DWORD
	;; [unrolled: 1-line block ×4, first 2 shown]
	v_fma_f16 v2, v5, v17, -v2
	v_fma_f16 v3, v4, v18, -v3
	;; [unrolled: 1-line block ×4, first 2 shown]
	v_sub_f16_e32 v8, v2, v3
	v_sub_f16_e32 v11, v9, v10
	v_add_f16_e32 v8, v11, v8
	v_mul_f16_sdwa v11, v4, v18 dst_sel:DWORD dst_unused:UNUSED_PAD src0_sel:WORD_1 src1_sel:DWORD
	v_mul_f16_sdwa v12, v5, v17 dst_sel:DWORD dst_unused:UNUSED_PAD src0_sel:WORD_1 src1_sel:DWORD
	v_fma_f16 v1, v4, v1, v11
	v_mul_f16_sdwa v4, v7, v45 dst_sel:DWORD dst_unused:UNUSED_PAD src0_sel:WORD_1 src1_sel:DWORD
	v_fma_f16 v5, v5, v25, v12
	;; [unrolled: 2-line block ×3, first 2 shown]
	v_fma_f16 v6, v6, v26, v12
	v_sub_f16_e32 v16, v5, v1
	v_sub_f16_e32 v17, v6, v4
	;; [unrolled: 1-line block ×4, first 2 shown]
	v_add_f16_e32 v16, v17, v16
	v_add_f16_e32 v17, v4, v1
	v_sub_f16_e32 v21, v3, v2
	v_sub_f16_e32 v22, v10, v9
	v_add_f16_e32 v24, v25, v24
	v_add_f16_e32 v25, v6, v5
	v_fma_f16 v17, v17, -0.5, v0
	v_add_f16_e32 v21, v22, v21
	v_add_f16_e32 v22, v9, v2
	v_fma_f16 v25, v25, -0.5, v0
	v_add_f16_e32 v0, v0, v1
	v_sub_f16_e32 v7, v1, v4
	v_add_f16_e32 v11, v10, v3
	v_sub_f16_e32 v20, v3, v10
	v_fma_f16 v22, v22, -0.5, v14
	v_add_f16_e32 v3, v3, v14
	v_add_f16_e32 v0, v5, v0
	v_fma_f16 v11, v11, -0.5, v14
	v_sub_f16_e32 v12, v5, v6
	v_sub_f16_e32 v18, v2, v9
	v_fma_f16 v23, v7, s15, v22
	v_fma_f16 v26, v20, s4, v25
	v_add_f16_e32 v2, v2, v3
	v_add_f16_e32 v0, v6, v0
	v_fma_f16 v13, v12, s4, v11
	v_fma_f16 v19, v18, s15, v17
	;; [unrolled: 1-line block ×4, first 2 shown]
	v_add_f16_e32 v2, v9, v2
	v_add_f16_e32 v0, v4, v0
	v_fma_f16 v1, v12, s15, v11
	v_fma_f16 v4, v18, s4, v17
	;; [unrolled: 1-line block ×6, first 2 shown]
	v_add_f16_e32 v2, v10, v2
	v_fma_f16 v1, v7, s14, v1
	v_fma_f16 v3, v7, s4, v22
	;; [unrolled: 1-line block ×10, first 2 shown]
	v_pack_b32_f16 v0, v0, v2
	v_pack_b32_f16 v2, v26, v23
	v_fma_f16 v3, v21, s5, v3
	v_fma_f16 v5, v24, s5, v5
	ds_write2_b32 v28, v0, v2 offset0:55 offset1:143
	v_pack_b32_f16 v0, v19, v13
	v_pack_b32_f16 v1, v4, v1
	v_add_u32_e32 v2, 0x200, v28
	ds_write2_b32 v2, v0, v1 offset0:103 offset1:191
	v_pack_b32_f16 v0, v5, v3
	ds_write_b32 v28, v0 offset:1628
.LBB0_21:
	s_or_b64 exec, exec, s[2:3]
	s_waitcnt lgkmcnt(0)
	; wave barrier
	s_waitcnt lgkmcnt(0)
	s_and_b64 exec, exec, vcc
	s_cbranch_execz .LBB0_23
; %bb.22:
	global_load_dword v5, v28, s[6:7]
	global_load_dword v8, v28, s[6:7] offset:160
	ds_read_b32 v17, v28
	ds_read2_b32 v[0:1], v28 offset0:40 offset1:80
	global_load_dword v9, v28, s[6:7] offset:320
	global_load_dword v10, v28, s[6:7] offset:480
	;; [unrolled: 1-line block ×5, first 2 shown]
	v_mad_u64_u32 v[13:14], s[0:1], s10, v15, 0
	v_mad_u64_u32 v[2:3], s[0:1], s8, v27, 0
	v_mov_b32_e32 v6, v14
	v_mov_b32_e32 v4, 0x7c00
	s_mov_b32 s14, 0x29e4129e
	s_mov_b32 s15, 0x3f629e41
	s_movk_i32 s18, 0x1ff
	s_waitcnt lgkmcnt(0)
	v_lshrrev_b32_e32 v20, 16, v0
	s_movk_i32 s17, 0xffe
	s_movk_i32 s16, 0x40f
	s_mov_b32 s10, 0x8000
	s_waitcnt vmcnt(0)
	v_mad_u64_u32 v[14:15], s[0:1], s11, v15, v[6:7]
	v_lshrrev_b32_e32 v6, 16, v17
	v_mad_u64_u32 v[15:16], s[0:1], s9, v27, v[3:4]
	v_mul_f16_sdwa v3, v6, v5 dst_sel:DWORD dst_unused:UNUSED_PAD src0_sel:DWORD src1_sel:WORD_1
	v_fma_f16 v3, v17, v5, v3
	v_mul_f16_sdwa v16, v17, v5 dst_sel:DWORD dst_unused:UNUSED_PAD src0_sel:DWORD src1_sel:WORD_1
	v_cvt_f32_f16_e32 v3, v3
	v_fma_f16 v5, v5, v6, -v16
	v_cvt_f32_f16_e32 v16, v5
	v_lshlrev_b64 v[13:14], 2, v[13:14]
	v_cvt_f64_f32_e32 v[5:6], v3
	v_mul_f16_sdwa v3, v20, v8 dst_sel:DWORD dst_unused:UNUSED_PAD src0_sel:DWORD src1_sel:WORD_1
	v_cvt_f64_f32_e32 v[16:17], v16
	v_fma_f16 v3, v0, v8, v3
	v_mul_f64 v[5:6], v[5:6], s[14:15]
	v_cvt_f32_f16_e32 v18, v3
	v_mul_f64 v[16:17], v[16:17], s[14:15]
	v_mov_b32_e32 v3, v15
	v_lshlrev_b64 v[2:3], 2, v[2:3]
	v_cvt_f64_f32_e32 v[18:19], v18
	v_mul_f16_sdwa v0, v0, v8 dst_sel:DWORD dst_unused:UNUSED_PAD src0_sel:DWORD src1_sel:WORD_1
	v_fma_f16 v0, v8, v20, -v0
	v_and_or_b32 v5, v6, s18, v5
	v_cmp_ne_u32_e32 vcc, 0, v5
	v_and_or_b32 v16, v17, s18, v16
	v_lshrrev_b32_e32 v15, 8, v6
	v_bfe_u32 v21, v6, 20, 11
	v_cndmask_b32_e64 v5, 0, 1, vcc
	v_cmp_ne_u32_e32 vcc, 0, v16
	v_lshrrev_b32_e32 v22, 8, v17
	v_bfe_u32 v23, v17, 20, 11
	v_sub_u32_e32 v24, 0x3f1, v21
	v_cndmask_b32_e64 v16, 0, 1, vcc
	v_and_or_b32 v5, v15, s17, v5
	v_sub_u32_e32 v25, 0x3f1, v23
	v_med3_i32 v15, v24, 0, 13
	v_and_or_b32 v16, v22, s17, v16
	v_or_b32_e32 v24, 0x1000, v5
	v_add_u32_e32 v21, 0xfffffc10, v21
	v_med3_i32 v22, v25, 0, 13
	v_cmp_ne_u32_e32 vcc, 0, v5
	v_or_b32_e32 v26, 0x1000, v16
	v_lshrrev_b32_e32 v30, v15, v24
	v_add_u32_e32 v23, 0xfffffc10, v23
	v_lshl_or_b32 v25, v21, 12, v5
	v_cndmask_b32_e64 v5, 0, 1, vcc
	v_cmp_ne_u32_e32 vcc, 0, v16
	v_lshrrev_b32_e32 v31, v22, v26
	v_lshlrev_b32_e32 v15, v15, v30
	v_lshl_or_b32 v29, v23, 12, v16
	v_cndmask_b32_e64 v16, 0, 1, vcc
	v_lshlrev_b32_e32 v22, v22, v31
	v_cmp_ne_u32_e32 vcc, v15, v24
	v_cndmask_b32_e64 v15, 0, 1, vcc
	v_cmp_ne_u32_e32 vcc, v22, v26
	v_cndmask_b32_e64 v22, 0, 1, vcc
	v_or_b32_e32 v15, v30, v15
	v_cmp_gt_i32_e32 vcc, 1, v21
	v_cndmask_b32_e32 v15, v25, v15, vcc
	v_or_b32_e32 v22, v31, v22
	v_cmp_gt_i32_e32 vcc, 1, v23
	v_and_b32_e32 v24, 7, v15
	v_cndmask_b32_e32 v22, v29, v22, vcc
	v_cmp_lt_i32_e32 vcc, 5, v24
	v_cmp_eq_u32_e64 s[0:1], 3, v24
	v_lshrrev_b32_e32 v15, 2, v15
	v_and_b32_e32 v25, 7, v22
	s_or_b64 vcc, s[0:1], vcc
	v_cmp_lt_i32_e64 s[2:3], 5, v25
	v_cmp_eq_u32_e64 s[4:5], 3, v25
	v_addc_co_u32_e32 v15, vcc, 0, v15, vcc
	v_lshrrev_b32_e32 v22, 2, v22
	s_or_b64 vcc, s[4:5], s[2:3]
	v_addc_co_u32_e32 v22, vcc, 0, v22, vcc
	v_cmp_gt_i32_e32 vcc, 31, v21
	v_cndmask_b32_e32 v15, v4, v15, vcc
	v_cmp_gt_i32_e32 vcc, 31, v23
	v_lshl_or_b32 v5, v5, 9, v4
	v_cndmask_b32_e32 v22, v4, v22, vcc
	v_cmp_eq_u32_e32 vcc, s16, v21
	v_lshl_or_b32 v16, v16, 9, v4
	v_cndmask_b32_e32 v5, v15, v5, vcc
	v_cmp_eq_u32_e32 vcc, s16, v23
	v_lshrrev_b32_e32 v6, 16, v6
	v_lshrrev_b32_e32 v17, 16, v17
	v_cndmask_b32_e32 v15, v22, v16, vcc
	v_and_or_b32 v5, v6, s10, v5
	v_and_or_b32 v6, v17, s10, v15
	v_mul_f64 v[15:16], v[18:19], s[14:15]
	v_and_b32_e32 v5, 0xffff, v5
	v_lshl_or_b32 v17, v6, 16, v5
	v_mov_b32_e32 v6, s13
	v_add_co_u32_e32 v5, vcc, s12, v13
	v_addc_co_u32_e32 v6, vcc, v6, v14, vcc
	v_add_co_u32_e32 v2, vcc, v5, v2
	v_addc_co_u32_e32 v3, vcc, v6, v3, vcc
	v_and_or_b32 v13, v16, s18, v15
	v_cmp_ne_u32_e32 vcc, 0, v13
	v_cndmask_b32_e64 v13, 0, 1, vcc
	v_lshrrev_b32_e32 v14, 8, v16
	v_and_or_b32 v15, v14, s17, v13
	v_bfe_u32 v14, v16, 20, 11
	global_store_dword v[2:3], v17, off
	v_sub_u32_e32 v17, 0x3f1, v14
	v_or_b32_e32 v13, 0x1000, v15
	v_med3_i32 v17, v17, 0, 13
	v_lshrrev_b32_e32 v18, v17, v13
	v_lshlrev_b32_e32 v17, v17, v18
	v_cmp_ne_u32_e32 vcc, v17, v13
	v_cndmask_b32_e64 v13, 0, 1, vcc
	v_add_u32_e32 v17, 0xfffffc10, v14
	v_cvt_f32_f16_e32 v0, v0
	v_or_b32_e32 v13, v18, v13
	v_lshl_or_b32 v14, v17, 12, v15
	v_cmp_gt_i32_e32 vcc, 1, v17
	v_cndmask_b32_e32 v13, v14, v13, vcc
	v_and_b32_e32 v14, 7, v13
	v_cmp_lt_i32_e32 vcc, 5, v14
	v_cmp_eq_u32_e64 s[0:1], 3, v14
	v_lshrrev_b32_e32 v8, 2, v13
	v_cvt_f64_f32_e32 v[13:14], v0
	s_or_b64 vcc, s[0:1], vcc
	v_addc_co_u32_e32 v0, vcc, 0, v8, vcc
	v_mul_f64 v[13:14], v[13:14], s[14:15]
	v_cmp_gt_i32_e32 vcc, 31, v17
	v_cndmask_b32_e32 v0, v4, v0, vcc
	v_cmp_ne_u32_e32 vcc, 0, v15
	v_cndmask_b32_e64 v8, 0, 1, vcc
	v_lshl_or_b32 v8, v8, 9, v4
	v_cmp_eq_u32_e32 vcc, s16, v17
	v_cndmask_b32_e32 v0, v0, v8, vcc
	v_lshrrev_b32_e32 v8, 16, v16
	v_and_or_b32 v0, v8, s10, v0
	v_and_or_b32 v8, v14, s18, v13
	v_cmp_ne_u32_e32 vcc, 0, v8
	v_cndmask_b32_e64 v8, 0, 1, vcc
	v_lshrrev_b32_e32 v13, 8, v14
	v_bfe_u32 v15, v14, 20, 11
	v_and_or_b32 v8, v13, s17, v8
	v_sub_u32_e32 v16, 0x3f1, v15
	v_or_b32_e32 v13, 0x1000, v8
	v_med3_i32 v16, v16, 0, 13
	v_lshrrev_b32_e32 v17, v16, v13
	v_lshlrev_b32_e32 v16, v16, v17
	v_cmp_ne_u32_e32 vcc, v16, v13
	v_cndmask_b32_e64 v13, 0, 1, vcc
	v_add_u32_e32 v15, 0xfffffc10, v15
	v_or_b32_e32 v13, v17, v13
	v_lshl_or_b32 v16, v15, 12, v8
	v_cmp_gt_i32_e32 vcc, 1, v15
	v_cndmask_b32_e32 v13, v16, v13, vcc
	v_and_b32_e32 v16, 7, v13
	v_cmp_lt_i32_e32 vcc, 5, v16
	v_cmp_eq_u32_e64 s[0:1], 3, v16
	v_lshrrev_b32_e32 v13, 2, v13
	s_or_b64 vcc, s[0:1], vcc
	v_addc_co_u32_e32 v13, vcc, 0, v13, vcc
	v_cmp_gt_i32_e32 vcc, 31, v15
	v_cndmask_b32_e32 v13, v4, v13, vcc
	v_cmp_ne_u32_e32 vcc, 0, v8
	v_cndmask_b32_e64 v8, 0, 1, vcc
	v_lshl_or_b32 v8, v8, 9, v4
	v_cmp_eq_u32_e32 vcc, s16, v15
	v_lshrrev_b32_e32 v15, 16, v1
	v_cndmask_b32_e32 v8, v13, v8, vcc
	v_lshrrev_b32_e32 v13, 16, v14
	v_mul_f16_sdwa v14, v15, v9 dst_sel:DWORD dst_unused:UNUSED_PAD src0_sel:DWORD src1_sel:WORD_1
	v_fma_f16 v14, v1, v9, v14
	v_cvt_f32_f16_e32 v14, v14
	v_and_or_b32 v8, v13, s10, v8
	s_mul_i32 s0, s9, 0xa0
	s_mul_hi_u32 s2, s8, 0xa0
	v_cvt_f64_f32_e32 v[13:14], v14
	v_and_b32_e32 v0, 0xffff, v0
	s_add_i32 s2, s2, s0
	s_mul_i32 s3, s8, 0xa0
	v_mul_f64 v[13:14], v[13:14], s[14:15]
	v_lshl_or_b32 v0, v8, 16, v0
	v_mov_b32_e32 v8, s2
	v_add_co_u32_e32 v2, vcc, s3, v2
	v_addc_co_u32_e32 v3, vcc, v3, v8, vcc
	global_store_dword v[2:3], v0, off
	v_and_or_b32 v0, v14, s18, v13
	v_cmp_ne_u32_e32 vcc, 0, v0
	v_cndmask_b32_e64 v0, 0, 1, vcc
	v_lshrrev_b32_e32 v8, 8, v14
	v_bfe_u32 v13, v14, 20, 11
	v_and_or_b32 v8, v8, s17, v0
	v_sub_u32_e32 v16, 0x3f1, v13
	v_or_b32_e32 v0, 0x1000, v8
	v_med3_i32 v16, v16, 0, 13
	v_lshrrev_b32_e32 v17, v16, v0
	v_mul_f16_sdwa v1, v1, v9 dst_sel:DWORD dst_unused:UNUSED_PAD src0_sel:DWORD src1_sel:WORD_1
	v_lshlrev_b32_e32 v16, v16, v17
	v_fma_f16 v1, v9, v15, -v1
	v_cmp_ne_u32_e32 vcc, v16, v0
	v_cvt_f32_f16_e32 v1, v1
	v_cndmask_b32_e64 v0, 0, 1, vcc
	v_add_u32_e32 v13, 0xfffffc10, v13
	v_or_b32_e32 v0, v17, v0
	v_lshl_or_b32 v16, v13, 12, v8
	v_cmp_gt_i32_e32 vcc, 1, v13
	v_cndmask_b32_e32 v0, v16, v0, vcc
	v_and_b32_e32 v16, 7, v0
	v_lshrrev_b32_e32 v9, 2, v0
	v_cvt_f64_f32_e32 v[0:1], v1
	v_cmp_lt_i32_e32 vcc, 5, v16
	v_cmp_eq_u32_e64 s[0:1], 3, v16
	s_or_b64 vcc, s[0:1], vcc
	v_mul_f64 v[0:1], v[0:1], s[14:15]
	v_addc_co_u32_e32 v9, vcc, 0, v9, vcc
	v_cmp_gt_i32_e32 vcc, 31, v13
	v_cndmask_b32_e32 v9, v4, v9, vcc
	v_cmp_ne_u32_e32 vcc, 0, v8
	v_cndmask_b32_e64 v8, 0, 1, vcc
	v_lshl_or_b32 v8, v8, 9, v4
	v_cmp_eq_u32_e32 vcc, s16, v13
	v_and_or_b32 v0, v1, s18, v0
	v_cndmask_b32_e32 v8, v9, v8, vcc
	v_lshrrev_b32_e32 v9, 16, v14
	v_cmp_ne_u32_e32 vcc, 0, v0
	v_and_or_b32 v15, v9, s10, v8
	v_cndmask_b32_e64 v0, 0, 1, vcc
	v_lshrrev_b32_e32 v8, 8, v1
	v_bfe_u32 v9, v1, 20, 11
	v_and_or_b32 v0, v8, s17, v0
	v_sub_u32_e32 v13, 0x3f1, v9
	v_or_b32_e32 v8, 0x1000, v0
	v_med3_i32 v13, v13, 0, 13
	v_lshrrev_b32_e32 v14, v13, v8
	v_lshlrev_b32_e32 v13, v13, v14
	v_cmp_ne_u32_e32 vcc, v13, v8
	v_cndmask_b32_e64 v8, 0, 1, vcc
	v_add_u32_e32 v13, 0xfffffc10, v9
	v_or_b32_e32 v8, v14, v8
	v_lshl_or_b32 v9, v13, 12, v0
	v_cmp_gt_i32_e32 vcc, 1, v13
	v_cndmask_b32_e32 v8, v9, v8, vcc
	v_and_b32_e32 v9, 7, v8
	v_cmp_lt_i32_e32 vcc, 5, v9
	v_cmp_eq_u32_e64 s[0:1], 3, v9
	v_lshrrev_b32_e32 v8, 2, v8
	s_or_b64 vcc, s[0:1], vcc
	v_addc_co_u32_e32 v14, vcc, 0, v8, vcc
	ds_read2_b32 v[8:9], v28 offset0:120 offset1:160
	v_cmp_gt_i32_e32 vcc, 31, v13
	v_cndmask_b32_e32 v14, v4, v14, vcc
	v_cmp_ne_u32_e32 vcc, 0, v0
	v_cndmask_b32_e64 v0, 0, 1, vcc
	s_waitcnt lgkmcnt(0)
	v_lshrrev_b32_e32 v16, 16, v8
	v_mul_f16_sdwa v17, v16, v10 dst_sel:DWORD dst_unused:UNUSED_PAD src0_sel:DWORD src1_sel:WORD_1
	v_fma_f16 v17, v8, v10, v17
	v_cvt_f32_f16_e32 v17, v17
	v_lshl_or_b32 v0, v0, 9, v4
	v_cmp_eq_u32_e32 vcc, s16, v13
	v_cndmask_b32_e32 v0, v14, v0, vcc
	v_cvt_f64_f32_e32 v[13:14], v17
	v_lshrrev_b32_e32 v1, 16, v1
	v_and_or_b32 v17, v1, s10, v0
	v_add_co_u32_e32 v2, vcc, s3, v2
	v_mul_f64 v[0:1], v[13:14], s[14:15]
	v_mov_b32_e32 v14, s2
	v_and_b32_e32 v15, 0xffff, v15
	v_addc_co_u32_e32 v3, vcc, v3, v14, vcc
	v_lshl_or_b32 v13, v17, 16, v15
	global_store_dword v[2:3], v13, off
	v_mul_f16_sdwa v8, v8, v10 dst_sel:DWORD dst_unused:UNUSED_PAD src0_sel:DWORD src1_sel:WORD_1
	v_and_or_b32 v0, v1, s18, v0
	v_cmp_ne_u32_e32 vcc, 0, v0
	v_cndmask_b32_e64 v0, 0, 1, vcc
	v_lshrrev_b32_e32 v13, 8, v1
	v_bfe_u32 v14, v1, 20, 11
	v_and_or_b32 v0, v13, s17, v0
	v_sub_u32_e32 v15, 0x3f1, v14
	v_or_b32_e32 v13, 0x1000, v0
	v_med3_i32 v15, v15, 0, 13
	v_lshrrev_b32_e32 v17, v15, v13
	v_lshlrev_b32_e32 v15, v15, v17
	v_cmp_ne_u32_e32 vcc, v15, v13
	v_fma_f16 v8, v10, v16, -v8
	v_cndmask_b32_e64 v13, 0, 1, vcc
	v_add_u32_e32 v15, 0xfffffc10, v14
	v_cvt_f32_f16_e32 v8, v8
	v_or_b32_e32 v13, v17, v13
	v_lshl_or_b32 v14, v15, 12, v0
	v_cmp_gt_i32_e32 vcc, 1, v15
	v_cndmask_b32_e32 v13, v14, v13, vcc
	v_and_b32_e32 v14, 7, v13
	v_cmp_lt_i32_e32 vcc, 5, v14
	v_cmp_eq_u32_e64 s[0:1], 3, v14
	v_lshrrev_b32_e32 v10, 2, v13
	v_cvt_f64_f32_e32 v[13:14], v8
	s_or_b64 vcc, s[0:1], vcc
	v_addc_co_u32_e32 v8, vcc, 0, v10, vcc
	v_mul_f64 v[13:14], v[13:14], s[14:15]
	v_cmp_gt_i32_e32 vcc, 31, v15
	v_cndmask_b32_e32 v8, v4, v8, vcc
	v_cmp_ne_u32_e32 vcc, 0, v0
	v_cndmask_b32_e64 v0, 0, 1, vcc
	v_lshl_or_b32 v0, v0, 9, v4
	v_cmp_eq_u32_e32 vcc, s16, v15
	v_cndmask_b32_e32 v0, v8, v0, vcc
	v_lshrrev_b32_e32 v1, 16, v1
	v_and_or_b32 v8, v1, s10, v0
	v_and_or_b32 v0, v14, s18, v13
	v_cmp_ne_u32_e32 vcc, 0, v0
	v_cndmask_b32_e64 v0, 0, 1, vcc
	v_lshrrev_b32_e32 v1, 8, v14
	v_bfe_u32 v10, v14, 20, 11
	v_and_or_b32 v0, v1, s17, v0
	v_sub_u32_e32 v13, 0x3f1, v10
	v_or_b32_e32 v1, 0x1000, v0
	v_med3_i32 v13, v13, 0, 13
	v_lshrrev_b32_e32 v15, v13, v1
	v_lshlrev_b32_e32 v13, v13, v15
	v_cmp_ne_u32_e32 vcc, v13, v1
	v_cndmask_b32_e64 v1, 0, 1, vcc
	v_add_u32_e32 v10, 0xfffffc10, v10
	v_or_b32_e32 v1, v15, v1
	v_lshl_or_b32 v13, v10, 12, v0
	v_cmp_gt_i32_e32 vcc, 1, v10
	v_cndmask_b32_e32 v1, v13, v1, vcc
	v_and_b32_e32 v13, 7, v1
	v_cmp_lt_i32_e32 vcc, 5, v13
	v_cmp_eq_u32_e64 s[0:1], 3, v13
	v_lshrrev_b32_e32 v13, 16, v9
	v_lshrrev_b32_e32 v1, 2, v1
	s_or_b64 vcc, s[0:1], vcc
	v_mul_f16_sdwa v15, v13, v11 dst_sel:DWORD dst_unused:UNUSED_PAD src0_sel:DWORD src1_sel:WORD_1
	v_addc_co_u32_e32 v1, vcc, 0, v1, vcc
	v_fma_f16 v15, v9, v11, v15
	v_cmp_gt_i32_e32 vcc, 31, v10
	v_cvt_f32_f16_e32 v15, v15
	v_cndmask_b32_e32 v1, v4, v1, vcc
	v_cmp_ne_u32_e32 vcc, 0, v0
	v_cndmask_b32_e64 v0, 0, 1, vcc
	v_lshl_or_b32 v0, v0, 9, v4
	v_cmp_eq_u32_e32 vcc, s16, v10
	v_cndmask_b32_e32 v10, v1, v0, vcc
	v_cvt_f64_f32_e32 v[0:1], v15
	v_lshrrev_b32_e32 v14, 16, v14
	v_and_or_b32 v10, v14, s10, v10
	v_and_b32_e32 v8, 0xffff, v8
	v_mul_f64 v[0:1], v[0:1], s[14:15]
	v_lshl_or_b32 v8, v10, 16, v8
	v_mov_b32_e32 v10, s2
	v_add_co_u32_e32 v2, vcc, s3, v2
	v_addc_co_u32_e32 v3, vcc, v3, v10, vcc
	global_store_dword v[2:3], v8, off
	v_and_or_b32 v0, v1, s18, v0
	v_cmp_ne_u32_e32 vcc, 0, v0
	v_cndmask_b32_e64 v0, 0, 1, vcc
	v_lshrrev_b32_e32 v8, 8, v1
	v_bfe_u32 v10, v1, 20, 11
	v_and_or_b32 v0, v8, s17, v0
	v_sub_u32_e32 v14, 0x3f1, v10
	v_or_b32_e32 v8, 0x1000, v0
	v_med3_i32 v14, v14, 0, 13
	v_lshrrev_b32_e32 v15, v14, v8
	v_mul_f16_sdwa v9, v9, v11 dst_sel:DWORD dst_unused:UNUSED_PAD src0_sel:DWORD src1_sel:WORD_1
	v_lshlrev_b32_e32 v14, v14, v15
	v_fma_f16 v9, v11, v13, -v9
	v_cmp_ne_u32_e32 vcc, v14, v8
	v_cvt_f32_f16_e32 v9, v9
	v_cndmask_b32_e64 v8, 0, 1, vcc
	v_add_u32_e32 v10, 0xfffffc10, v10
	v_or_b32_e32 v8, v15, v8
	v_lshl_or_b32 v14, v10, 12, v0
	v_cmp_gt_i32_e32 vcc, 1, v10
	v_cndmask_b32_e32 v8, v14, v8, vcc
	v_and_b32_e32 v14, 7, v8
	v_lshrrev_b32_e32 v11, 2, v8
	v_cvt_f64_f32_e32 v[8:9], v9
	v_cmp_lt_i32_e32 vcc, 5, v14
	v_cmp_eq_u32_e64 s[0:1], 3, v14
	s_or_b64 vcc, s[0:1], vcc
	v_mul_f64 v[8:9], v[8:9], s[14:15]
	v_addc_co_u32_e32 v11, vcc, 0, v11, vcc
	v_cmp_gt_i32_e32 vcc, 31, v10
	v_cndmask_b32_e32 v11, v4, v11, vcc
	v_cmp_ne_u32_e32 vcc, 0, v0
	v_cndmask_b32_e64 v0, 0, 1, vcc
	v_lshl_or_b32 v0, v0, 9, v4
	v_cmp_eq_u32_e32 vcc, s16, v10
	v_cndmask_b32_e32 v0, v11, v0, vcc
	v_lshrrev_b32_e32 v1, 16, v1
	v_and_or_b32 v13, v1, s10, v0
	v_and_or_b32 v0, v9, s18, v8
	v_cmp_ne_u32_e32 vcc, 0, v0
	v_cndmask_b32_e64 v0, 0, 1, vcc
	v_lshrrev_b32_e32 v1, 8, v9
	v_and_or_b32 v8, v1, s17, v0
	v_bfe_u32 v1, v9, 20, 11
	v_sub_u32_e32 v10, 0x3f1, v1
	v_or_b32_e32 v0, 0x1000, v8
	v_med3_i32 v10, v10, 0, 13
	v_lshrrev_b32_e32 v11, v10, v0
	v_lshlrev_b32_e32 v10, v10, v11
	v_cmp_ne_u32_e32 vcc, v10, v0
	v_cndmask_b32_e64 v0, 0, 1, vcc
	v_add_u32_e32 v10, 0xfffffc10, v1
	v_or_b32_e32 v0, v11, v0
	v_lshl_or_b32 v1, v10, 12, v8
	v_cmp_gt_i32_e32 vcc, 1, v10
	v_cndmask_b32_e32 v0, v1, v0, vcc
	v_and_b32_e32 v1, 7, v0
	v_cmp_lt_i32_e32 vcc, 5, v1
	v_cmp_eq_u32_e64 s[0:1], 3, v1
	v_lshrrev_b32_e32 v0, 2, v0
	s_or_b64 vcc, s[0:1], vcc
	v_addc_co_u32_e32 v11, vcc, 0, v0, vcc
	ds_read2_b32 v[0:1], v28 offset0:200 offset1:240
	v_cmp_gt_i32_e32 vcc, 31, v10
	v_cndmask_b32_e32 v11, v4, v11, vcc
	v_cmp_ne_u32_e32 vcc, 0, v8
	v_cndmask_b32_e64 v8, 0, 1, vcc
	s_waitcnt lgkmcnt(0)
	v_lshrrev_b32_e32 v14, 16, v0
	v_mul_f16_sdwa v15, v14, v12 dst_sel:DWORD dst_unused:UNUSED_PAD src0_sel:DWORD src1_sel:WORD_1
	v_fma_f16 v15, v0, v12, v15
	v_cvt_f32_f16_e32 v15, v15
	v_lshl_or_b32 v8, v8, 9, v4
	v_cmp_eq_u32_e32 vcc, s16, v10
	v_cndmask_b32_e32 v8, v11, v8, vcc
	v_cvt_f64_f32_e32 v[10:11], v15
	v_lshrrev_b32_e32 v9, 16, v9
	v_and_or_b32 v15, v9, s10, v8
	v_add_co_u32_e32 v2, vcc, s3, v2
	v_mul_f64 v[8:9], v[10:11], s[14:15]
	v_mov_b32_e32 v11, s2
	v_and_b32_e32 v13, 0xffff, v13
	v_addc_co_u32_e32 v3, vcc, v3, v11, vcc
	v_lshl_or_b32 v10, v15, 16, v13
	global_store_dword v[2:3], v10, off
	v_mul_f16_sdwa v0, v0, v12 dst_sel:DWORD dst_unused:UNUSED_PAD src0_sel:DWORD src1_sel:WORD_1
	v_and_or_b32 v8, v9, s18, v8
	v_cmp_ne_u32_e32 vcc, 0, v8
	v_cndmask_b32_e64 v8, 0, 1, vcc
	v_lshrrev_b32_e32 v10, 8, v9
	v_bfe_u32 v11, v9, 20, 11
	v_and_or_b32 v8, v10, s17, v8
	v_sub_u32_e32 v13, 0x3f1, v11
	v_or_b32_e32 v10, 0x1000, v8
	v_med3_i32 v13, v13, 0, 13
	v_lshrrev_b32_e32 v15, v13, v10
	v_lshlrev_b32_e32 v13, v13, v15
	v_cmp_ne_u32_e32 vcc, v13, v10
	v_fma_f16 v0, v12, v14, -v0
	v_cndmask_b32_e64 v10, 0, 1, vcc
	v_add_u32_e32 v13, 0xfffffc10, v11
	v_cvt_f32_f16_e32 v0, v0
	v_or_b32_e32 v10, v15, v10
	v_lshl_or_b32 v11, v13, 12, v8
	v_cmp_gt_i32_e32 vcc, 1, v13
	v_cndmask_b32_e32 v10, v11, v10, vcc
	v_and_b32_e32 v11, 7, v10
	v_cmp_lt_i32_e32 vcc, 5, v11
	v_cmp_eq_u32_e64 s[0:1], 3, v11
	v_lshrrev_b32_e32 v12, 2, v10
	v_cvt_f64_f32_e32 v[10:11], v0
	s_or_b64 vcc, s[0:1], vcc
	v_addc_co_u32_e32 v0, vcc, 0, v12, vcc
	v_mul_f64 v[10:11], v[10:11], s[14:15]
	v_cmp_gt_i32_e32 vcc, 31, v13
	v_cndmask_b32_e32 v0, v4, v0, vcc
	v_cmp_ne_u32_e32 vcc, 0, v8
	v_cndmask_b32_e64 v8, 0, 1, vcc
	v_lshl_or_b32 v8, v8, 9, v4
	v_cmp_eq_u32_e32 vcc, s16, v13
	v_cndmask_b32_e32 v0, v0, v8, vcc
	v_lshrrev_b32_e32 v8, 16, v9
	v_and_or_b32 v0, v8, s10, v0
	v_and_or_b32 v8, v11, s18, v10
	v_cmp_ne_u32_e32 vcc, 0, v8
	v_cndmask_b32_e64 v8, 0, 1, vcc
	v_lshrrev_b32_e32 v9, 8, v11
	v_bfe_u32 v10, v11, 20, 11
	v_and_or_b32 v8, v9, s17, v8
	v_sub_u32_e32 v12, 0x3f1, v10
	v_or_b32_e32 v9, 0x1000, v8
	v_med3_i32 v12, v12, 0, 13
	v_lshrrev_b32_e32 v13, v12, v9
	v_lshlrev_b32_e32 v12, v12, v13
	v_cmp_ne_u32_e32 vcc, v12, v9
	v_cndmask_b32_e64 v9, 0, 1, vcc
	v_add_u32_e32 v10, 0xfffffc10, v10
	v_or_b32_e32 v9, v13, v9
	v_lshl_or_b32 v12, v10, 12, v8
	v_cmp_gt_i32_e32 vcc, 1, v10
	v_cndmask_b32_e32 v9, v12, v9, vcc
	v_and_b32_e32 v12, 7, v9
	v_cmp_lt_i32_e32 vcc, 5, v12
	v_cmp_eq_u32_e64 s[0:1], 3, v12
	v_lshrrev_b32_e32 v9, 2, v9
	s_or_b64 vcc, s[0:1], vcc
	v_addc_co_u32_e32 v9, vcc, 0, v9, vcc
	v_cmp_gt_i32_e32 vcc, 31, v10
	v_cndmask_b32_e32 v9, v4, v9, vcc
	v_cmp_ne_u32_e32 vcc, 0, v8
	v_cndmask_b32_e64 v8, 0, 1, vcc
	v_lshl_or_b32 v8, v8, 9, v4
	v_cmp_eq_u32_e32 vcc, s16, v10
	v_cndmask_b32_e32 v10, v9, v8, vcc
	v_lshrrev_b32_e32 v11, 16, v11
	v_and_or_b32 v10, v11, s10, v10
	global_load_dword v11, v28, s[6:7] offset:1120
	v_lshrrev_b32_e32 v12, 16, v1
	v_mul_f16_sdwa v13, v12, v7 dst_sel:DWORD dst_unused:UNUSED_PAD src0_sel:DWORD src1_sel:WORD_1
	v_fma_f16 v13, v1, v7, v13
	v_cvt_f32_f16_e32 v13, v13
	v_and_b32_e32 v0, 0xffff, v0
	v_lshl_or_b32 v0, v10, 16, v0
	v_mov_b32_e32 v10, s2
	v_cvt_f64_f32_e32 v[8:9], v13
	v_add_co_u32_e32 v2, vcc, s3, v2
	v_addc_co_u32_e32 v3, vcc, v3, v10, vcc
	v_mul_f64 v[8:9], v[8:9], s[14:15]
	global_store_dword v[2:3], v0, off
	v_mul_f16_sdwa v1, v1, v7 dst_sel:DWORD dst_unused:UNUSED_PAD src0_sel:DWORD src1_sel:WORD_1
	v_fma_f16 v1, v7, v12, -v1
	v_cvt_f32_f16_e32 v1, v1
	v_and_or_b32 v0, v9, s18, v8
	v_cmp_ne_u32_e32 vcc, 0, v0
	v_cndmask_b32_e64 v0, 0, 1, vcc
	v_lshrrev_b32_e32 v8, 8, v9
	v_bfe_u32 v10, v9, 20, 11
	v_and_or_b32 v8, v8, s17, v0
	v_sub_u32_e32 v13, 0x3f1, v10
	v_or_b32_e32 v0, 0x1000, v8
	v_med3_i32 v13, v13, 0, 13
	v_lshrrev_b32_e32 v14, v13, v0
	v_lshlrev_b32_e32 v13, v13, v14
	v_cmp_ne_u32_e32 vcc, v13, v0
	v_cndmask_b32_e64 v0, 0, 1, vcc
	v_add_u32_e32 v10, 0xfffffc10, v10
	v_or_b32_e32 v0, v14, v0
	v_lshl_or_b32 v13, v10, 12, v8
	v_cmp_gt_i32_e32 vcc, 1, v10
	v_cndmask_b32_e32 v0, v13, v0, vcc
	v_and_b32_e32 v13, 7, v0
	v_lshrrev_b32_e32 v7, 2, v0
	v_cvt_f64_f32_e32 v[0:1], v1
	v_cmp_lt_i32_e32 vcc, 5, v13
	v_cmp_eq_u32_e64 s[0:1], 3, v13
	s_or_b64 vcc, s[0:1], vcc
	v_mul_f64 v[0:1], v[0:1], s[14:15]
	v_addc_co_u32_e32 v7, vcc, 0, v7, vcc
	v_cmp_gt_i32_e32 vcc, 31, v10
	v_cndmask_b32_e32 v7, v4, v7, vcc
	v_cmp_ne_u32_e32 vcc, 0, v8
	v_cndmask_b32_e64 v8, 0, 1, vcc
	v_lshl_or_b32 v8, v8, 9, v4
	v_cmp_eq_u32_e32 vcc, s16, v10
	v_and_or_b32 v0, v1, s18, v0
	v_cndmask_b32_e32 v7, v7, v8, vcc
	v_lshrrev_b32_e32 v8, 16, v9
	v_cmp_ne_u32_e32 vcc, 0, v0
	v_and_or_b32 v12, v8, s10, v7
	v_cndmask_b32_e64 v0, 0, 1, vcc
	v_lshrrev_b32_e32 v7, 8, v1
	v_bfe_u32 v8, v1, 20, 11
	v_and_or_b32 v0, v7, s17, v0
	v_sub_u32_e32 v9, 0x3f1, v8
	v_or_b32_e32 v7, 0x1000, v0
	v_med3_i32 v9, v9, 0, 13
	v_lshrrev_b32_e32 v10, v9, v7
	v_lshlrev_b32_e32 v9, v9, v10
	v_cmp_ne_u32_e32 vcc, v9, v7
	v_cndmask_b32_e64 v7, 0, 1, vcc
	v_add_u32_e32 v9, 0xfffffc10, v8
	v_or_b32_e32 v7, v10, v7
	v_lshl_or_b32 v8, v9, 12, v0
	v_cmp_gt_i32_e32 vcc, 1, v9
	v_cndmask_b32_e32 v7, v8, v7, vcc
	v_and_b32_e32 v8, 7, v7
	v_cmp_lt_i32_e32 vcc, 5, v8
	v_cmp_eq_u32_e64 s[0:1], 3, v8
	v_lshrrev_b32_e32 v7, 2, v7
	s_or_b64 vcc, s[0:1], vcc
	v_add_u32_e32 v13, 0x400, v28
	v_addc_co_u32_e32 v10, vcc, 0, v7, vcc
	ds_read2_b32 v[7:8], v13 offset0:24 offset1:64
	global_load_dword v15, v28, s[6:7] offset:1280
	global_load_dword v16, v28, s[6:7] offset:1440
	;; [unrolled: 1-line block ×3, first 2 shown]
	v_cmp_gt_i32_e32 vcc, 31, v9
	v_cndmask_b32_e32 v10, v4, v10, vcc
	v_cmp_ne_u32_e32 vcc, 0, v0
	s_waitcnt lgkmcnt(0)
	v_lshrrev_b32_e32 v14, 16, v7
	s_waitcnt vmcnt(4)
	v_mul_f16_sdwa v18, v14, v11 dst_sel:DWORD dst_unused:UNUSED_PAD src0_sel:DWORD src1_sel:WORD_1
	v_fma_f16 v18, v7, v11, v18
	v_cvt_f32_f16_e32 v18, v18
	v_cndmask_b32_e64 v0, 0, 1, vcc
	v_lshl_or_b32 v0, v0, 9, v4
	v_cmp_eq_u32_e32 vcc, s16, v9
	v_cndmask_b32_e32 v0, v10, v0, vcc
	v_cvt_f64_f32_e32 v[9:10], v18
	v_lshrrev_b32_e32 v1, 16, v1
	v_and_or_b32 v18, v1, s10, v0
	v_add_co_u32_e32 v2, vcc, s3, v2
	v_mul_f64 v[0:1], v[9:10], s[14:15]
	v_mov_b32_e32 v10, s2
	v_and_b32_e32 v12, 0xffff, v12
	v_addc_co_u32_e32 v3, vcc, v3, v10, vcc
	v_lshl_or_b32 v9, v18, 16, v12
	global_store_dword v[2:3], v9, off
	v_mul_f16_sdwa v7, v7, v11 dst_sel:DWORD dst_unused:UNUSED_PAD src0_sel:DWORD src1_sel:WORD_1
	v_and_or_b32 v0, v1, s18, v0
	v_cmp_ne_u32_e32 vcc, 0, v0
	v_cndmask_b32_e64 v0, 0, 1, vcc
	v_lshrrev_b32_e32 v9, 8, v1
	v_bfe_u32 v10, v1, 20, 11
	v_and_or_b32 v0, v9, s17, v0
	v_sub_u32_e32 v12, 0x3f1, v10
	v_or_b32_e32 v9, 0x1000, v0
	v_med3_i32 v12, v12, 0, 13
	v_lshrrev_b32_e32 v18, v12, v9
	v_lshlrev_b32_e32 v12, v12, v18
	v_cmp_ne_u32_e32 vcc, v12, v9
	v_fma_f16 v7, v11, v14, -v7
	v_cndmask_b32_e64 v9, 0, 1, vcc
	v_add_u32_e32 v12, 0xfffffc10, v10
	v_cvt_f32_f16_e32 v7, v7
	v_or_b32_e32 v9, v18, v9
	v_lshl_or_b32 v10, v12, 12, v0
	v_cmp_gt_i32_e32 vcc, 1, v12
	v_cndmask_b32_e32 v9, v10, v9, vcc
	v_and_b32_e32 v10, 7, v9
	v_cmp_lt_i32_e32 vcc, 5, v10
	v_cmp_eq_u32_e64 s[0:1], 3, v10
	v_lshrrev_b32_e32 v11, 2, v9
	v_cvt_f64_f32_e32 v[9:10], v7
	s_or_b64 vcc, s[0:1], vcc
	v_addc_co_u32_e32 v7, vcc, 0, v11, vcc
	v_mul_f64 v[9:10], v[9:10], s[14:15]
	v_cmp_gt_i32_e32 vcc, 31, v12
	v_cndmask_b32_e32 v7, v4, v7, vcc
	v_cmp_ne_u32_e32 vcc, 0, v0
	v_cndmask_b32_e64 v0, 0, 1, vcc
	v_lshl_or_b32 v0, v0, 9, v4
	v_cmp_eq_u32_e32 vcc, s16, v12
	v_cndmask_b32_e32 v0, v7, v0, vcc
	v_lshrrev_b32_e32 v1, 16, v1
	v_and_or_b32 v7, v1, s10, v0
	v_and_or_b32 v0, v10, s18, v9
	v_cmp_ne_u32_e32 vcc, 0, v0
	v_cndmask_b32_e64 v0, 0, 1, vcc
	v_lshrrev_b32_e32 v1, 8, v10
	v_bfe_u32 v9, v10, 20, 11
	v_and_or_b32 v0, v1, s17, v0
	v_sub_u32_e32 v11, 0x3f1, v9
	v_or_b32_e32 v1, 0x1000, v0
	v_med3_i32 v11, v11, 0, 13
	v_lshrrev_b32_e32 v12, v11, v1
	v_lshlrev_b32_e32 v11, v11, v12
	v_cmp_ne_u32_e32 vcc, v11, v1
	v_cndmask_b32_e64 v1, 0, 1, vcc
	v_add_u32_e32 v9, 0xfffffc10, v9
	v_or_b32_e32 v1, v12, v1
	v_lshl_or_b32 v11, v9, 12, v0
	v_cmp_gt_i32_e32 vcc, 1, v9
	v_cndmask_b32_e32 v1, v11, v1, vcc
	v_and_b32_e32 v11, 7, v1
	v_cmp_lt_i32_e32 vcc, 5, v11
	v_cmp_eq_u32_e64 s[0:1], 3, v11
	v_lshrrev_b32_e32 v11, 16, v8
	v_lshrrev_b32_e32 v1, 2, v1
	s_or_b64 vcc, s[0:1], vcc
	s_waitcnt vmcnt(3)
	v_mul_f16_sdwa v12, v11, v15 dst_sel:DWORD dst_unused:UNUSED_PAD src0_sel:DWORD src1_sel:WORD_1
	v_addc_co_u32_e32 v1, vcc, 0, v1, vcc
	v_fma_f16 v12, v8, v15, v12
	v_cmp_gt_i32_e32 vcc, 31, v9
	v_cvt_f32_f16_e32 v12, v12
	v_cndmask_b32_e32 v1, v4, v1, vcc
	v_cmp_ne_u32_e32 vcc, 0, v0
	v_cndmask_b32_e64 v0, 0, 1, vcc
	v_lshl_or_b32 v0, v0, 9, v4
	v_cmp_eq_u32_e32 vcc, s16, v9
	v_cndmask_b32_e32 v9, v1, v0, vcc
	v_cvt_f64_f32_e32 v[0:1], v12
	v_lshrrev_b32_e32 v10, 16, v10
	v_and_or_b32 v9, v10, s10, v9
	v_and_b32_e32 v7, 0xffff, v7
	v_mul_f64 v[0:1], v[0:1], s[14:15]
	v_lshl_or_b32 v7, v9, 16, v7
	v_mov_b32_e32 v9, s2
	v_add_co_u32_e32 v2, vcc, s3, v2
	v_addc_co_u32_e32 v3, vcc, v3, v9, vcc
	global_store_dword v[2:3], v7, off
	v_and_or_b32 v0, v1, s18, v0
	v_cmp_ne_u32_e32 vcc, 0, v0
	v_cndmask_b32_e64 v0, 0, 1, vcc
	v_lshrrev_b32_e32 v7, 8, v1
	v_bfe_u32 v9, v1, 20, 11
	v_and_or_b32 v0, v7, s17, v0
	v_sub_u32_e32 v10, 0x3f1, v9
	v_or_b32_e32 v7, 0x1000, v0
	v_med3_i32 v10, v10, 0, 13
	v_lshrrev_b32_e32 v14, v10, v7
	v_lshlrev_b32_e32 v10, v10, v14
	v_mul_f16_sdwa v8, v8, v15 dst_sel:DWORD dst_unused:UNUSED_PAD src0_sel:DWORD src1_sel:WORD_1
	v_cmp_ne_u32_e32 vcc, v10, v7
	v_fma_f16 v8, v15, v11, -v8
	v_cndmask_b32_e64 v7, 0, 1, vcc
	v_add_u32_e32 v9, 0xfffffc10, v9
	v_cvt_f32_f16_e32 v8, v8
	v_or_b32_e32 v7, v14, v7
	v_lshl_or_b32 v10, v9, 12, v0
	v_cmp_gt_i32_e32 vcc, 1, v9
	v_cndmask_b32_e32 v7, v10, v7, vcc
	v_and_b32_e32 v10, 7, v7
	v_cmp_lt_i32_e32 vcc, 5, v10
	v_cmp_eq_u32_e64 s[0:1], 3, v10
	v_lshrrev_b32_e32 v10, 2, v7
	v_cvt_f64_f32_e32 v[7:8], v8
	s_or_b64 vcc, s[0:1], vcc
	v_addc_co_u32_e32 v10, vcc, 0, v10, vcc
	v_mul_f64 v[7:8], v[7:8], s[14:15]
	v_cmp_gt_i32_e32 vcc, 31, v9
	v_cndmask_b32_e32 v10, v4, v10, vcc
	v_cmp_ne_u32_e32 vcc, 0, v0
	v_cndmask_b32_e64 v0, 0, 1, vcc
	v_lshl_or_b32 v0, v0, 9, v4
	v_cmp_eq_u32_e32 vcc, s16, v9
	v_cndmask_b32_e32 v0, v10, v0, vcc
	v_lshrrev_b32_e32 v1, 16, v1
	v_and_or_b32 v14, v1, s10, v0
	v_and_or_b32 v0, v8, s18, v7
	v_cmp_ne_u32_e32 vcc, 0, v0
	v_cndmask_b32_e64 v0, 0, 1, vcc
	v_lshrrev_b32_e32 v1, 8, v8
	v_bfe_u32 v7, v8, 20, 11
	v_and_or_b32 v0, v1, s17, v0
	v_sub_u32_e32 v9, 0x3f1, v7
	v_or_b32_e32 v1, 0x1000, v0
	v_med3_i32 v9, v9, 0, 13
	v_lshrrev_b32_e32 v10, v9, v1
	v_lshlrev_b32_e32 v9, v9, v10
	v_cmp_ne_u32_e32 vcc, v9, v1
	v_cndmask_b32_e64 v1, 0, 1, vcc
	v_add_u32_e32 v7, 0xfffffc10, v7
	v_or_b32_e32 v1, v10, v1
	v_lshl_or_b32 v9, v7, 12, v0
	v_cmp_gt_i32_e32 vcc, 1, v7
	v_cndmask_b32_e32 v1, v9, v1, vcc
	v_and_b32_e32 v9, 7, v1
	v_cmp_lt_i32_e32 vcc, 5, v9
	v_cmp_eq_u32_e64 s[0:1], 3, v9
	v_lshrrev_b32_e32 v1, 2, v1
	s_or_b64 vcc, s[0:1], vcc
	ds_read2_b32 v[9:10], v13 offset0:104 offset1:144
	v_addc_co_u32_e32 v1, vcc, 0, v1, vcc
	v_cmp_gt_i32_e32 vcc, 31, v7
	v_cndmask_b32_e32 v11, v4, v1, vcc
	v_cmp_ne_u32_e32 vcc, 0, v0
	v_cndmask_b32_e64 v15, 0, 1, vcc
	v_lshl_or_b32 v13, v15, 9, v4
	s_waitcnt lgkmcnt(0)
	v_lshrrev_b32_e32 v15, 16, v9
	v_cmp_eq_u32_e32 vcc, s16, v7
	s_waitcnt vmcnt(3)
	v_mul_f16_sdwa v7, v15, v16 dst_sel:DWORD dst_unused:UNUSED_PAD src0_sel:DWORD src1_sel:WORD_1
	v_or_b32_e32 v12, 0x140, v27
	v_fma_f16 v7, v9, v16, v7
	v_mad_u64_u32 v[0:1], s[0:1], s8, v12, 0
	v_cvt_f32_f16_e32 v7, v7
	v_cndmask_b32_e32 v13, v11, v13, vcc
	v_mad_u64_u32 v[11:12], s[0:1], s9, v12, v[1:2]
	v_lshrrev_b32_e32 v1, 16, v8
	v_cvt_f64_f32_e32 v[7:8], v7
	v_and_or_b32 v12, v1, s10, v13
	v_mov_b32_e32 v1, v11
	v_lshlrev_b64 v[0:1], 2, v[0:1]
	v_mul_f64 v[7:8], v[7:8], s[14:15]
	v_and_b32_e32 v11, 0xffff, v14
	v_add_co_u32_e32 v0, vcc, v5, v0
	v_lshl_or_b32 v11, v12, 16, v11
	v_addc_co_u32_e32 v1, vcc, v6, v1, vcc
	global_store_dword v[0:1], v11, off
	v_and_or_b32 v0, v8, s18, v7
	v_cmp_ne_u32_e32 vcc, 0, v0
	v_cndmask_b32_e64 v0, 0, 1, vcc
	v_lshrrev_b32_e32 v1, 8, v8
	v_and_or_b32 v5, v1, s17, v0
	v_bfe_u32 v1, v8, 20, 11
	v_sub_u32_e32 v6, 0x3f1, v1
	v_or_b32_e32 v0, 0x1000, v5
	v_med3_i32 v6, v6, 0, 13
	v_lshrrev_b32_e32 v7, v6, v0
	v_lshlrev_b32_e32 v6, v6, v7
	v_cmp_ne_u32_e32 vcc, v6, v0
	v_cndmask_b32_e64 v0, 0, 1, vcc
	v_or_b32_e32 v0, v7, v0
	v_mul_f16_sdwa v7, v9, v16 dst_sel:DWORD dst_unused:UNUSED_PAD src0_sel:DWORD src1_sel:WORD_1
	v_fma_f16 v7, v16, v15, -v7
	v_add_u32_e32 v6, 0xfffffc10, v1
	v_cvt_f32_f16_e32 v7, v7
	v_lshl_or_b32 v1, v6, 12, v5
	v_cmp_gt_i32_e32 vcc, 1, v6
	v_cndmask_b32_e32 v0, v1, v0, vcc
	v_and_b32_e32 v1, 7, v0
	v_cmp_lt_i32_e32 vcc, 5, v1
	v_cmp_eq_u32_e64 s[0:1], 3, v1
	v_lshrrev_b32_e32 v9, 2, v0
	v_cvt_f64_f32_e32 v[0:1], v7
	s_or_b64 vcc, s[0:1], vcc
	v_addc_co_u32_e32 v7, vcc, 0, v9, vcc
	v_mul_f64 v[0:1], v[0:1], s[14:15]
	v_cmp_gt_i32_e32 vcc, 31, v6
	v_cndmask_b32_e32 v7, v4, v7, vcc
	v_cmp_ne_u32_e32 vcc, 0, v5
	v_cndmask_b32_e64 v5, 0, 1, vcc
	v_lshl_or_b32 v5, v5, 9, v4
	v_cmp_eq_u32_e32 vcc, s16, v6
	v_cndmask_b32_e32 v5, v7, v5, vcc
	v_and_or_b32 v0, v1, s18, v0
	v_lshrrev_b32_e32 v6, 16, v8
	v_cmp_ne_u32_e32 vcc, 0, v0
	v_and_or_b32 v7, v6, s10, v5
	v_cndmask_b32_e64 v0, 0, 1, vcc
	v_lshrrev_b32_e32 v5, 8, v1
	v_bfe_u32 v6, v1, 20, 11
	v_and_or_b32 v0, v5, s17, v0
	v_sub_u32_e32 v8, 0x3f1, v6
	v_or_b32_e32 v5, 0x1000, v0
	v_med3_i32 v8, v8, 0, 13
	v_lshrrev_b32_e32 v9, v8, v5
	v_lshlrev_b32_e32 v8, v8, v9
	v_cmp_ne_u32_e32 vcc, v8, v5
	v_cndmask_b32_e64 v5, 0, 1, vcc
	v_add_u32_e32 v6, 0xfffffc10, v6
	v_or_b32_e32 v5, v9, v5
	v_lshl_or_b32 v8, v6, 12, v0
	v_cmp_gt_i32_e32 vcc, 1, v6
	v_cndmask_b32_e32 v5, v8, v5, vcc
	v_and_b32_e32 v8, 7, v5
	v_cmp_lt_i32_e32 vcc, 5, v8
	v_cmp_eq_u32_e64 s[0:1], 3, v8
	v_lshrrev_b32_e32 v8, 16, v10
	v_lshrrev_b32_e32 v5, 2, v5
	s_or_b64 vcc, s[0:1], vcc
	s_waitcnt vmcnt(3)
	v_mul_f16_sdwa v9, v8, v17 dst_sel:DWORD dst_unused:UNUSED_PAD src0_sel:DWORD src1_sel:WORD_1
	v_addc_co_u32_e32 v5, vcc, 0, v5, vcc
	v_fma_f16 v9, v10, v17, v9
	v_cmp_gt_i32_e32 vcc, 31, v6
	v_cvt_f32_f16_e32 v9, v9
	v_cndmask_b32_e32 v5, v4, v5, vcc
	v_cmp_ne_u32_e32 vcc, 0, v0
	v_cndmask_b32_e64 v0, 0, 1, vcc
	v_lshl_or_b32 v0, v0, 9, v4
	v_cmp_eq_u32_e32 vcc, s16, v6
	v_cndmask_b32_e32 v0, v5, v0, vcc
	v_cvt_f64_f32_e32 v[5:6], v9
	v_lshrrev_b32_e32 v1, 16, v1
	v_and_or_b32 v9, v1, s10, v0
	v_mov_b32_e32 v11, 0x140
	v_mul_f64 v[0:1], v[5:6], s[14:15]
	v_mad_u64_u32 v[2:3], s[0:1], s8, v11, v[2:3]
	v_and_b32_e32 v5, 0xffff, v7
	s_mul_i32 s0, s9, 0x140
	v_lshl_or_b32 v5, v9, 16, v5
	v_add_u32_e32 v3, s0, v3
	global_store_dword v[2:3], v5, off
	v_and_or_b32 v0, v1, s18, v0
	v_cmp_ne_u32_e32 vcc, 0, v0
	v_cndmask_b32_e64 v0, 0, 1, vcc
	v_lshrrev_b32_e32 v5, 8, v1
	v_bfe_u32 v6, v1, 20, 11
	v_and_or_b32 v0, v5, s17, v0
	v_sub_u32_e32 v7, 0x3f1, v6
	v_or_b32_e32 v5, 0x1000, v0
	v_med3_i32 v7, v7, 0, 13
	v_lshrrev_b32_e32 v9, v7, v5
	v_lshlrev_b32_e32 v7, v7, v9
	v_cmp_ne_u32_e32 vcc, v7, v5
	v_cndmask_b32_e64 v5, 0, 1, vcc
	v_or_b32_e32 v5, v9, v5
	v_mul_f16_sdwa v9, v10, v17 dst_sel:DWORD dst_unused:UNUSED_PAD src0_sel:DWORD src1_sel:WORD_1
	v_fma_f16 v8, v17, v8, -v9
	v_add_u32_e32 v7, 0xfffffc10, v6
	v_cvt_f32_f16_e32 v8, v8
	v_lshl_or_b32 v6, v7, 12, v0
	v_cmp_gt_i32_e32 vcc, 1, v7
	v_cndmask_b32_e32 v5, v6, v5, vcc
	v_and_b32_e32 v6, 7, v5
	v_cmp_lt_i32_e32 vcc, 5, v6
	v_cmp_eq_u32_e64 s[0:1], 3, v6
	v_lshrrev_b32_e32 v9, 2, v5
	v_cvt_f64_f32_e32 v[5:6], v8
	s_or_b64 vcc, s[0:1], vcc
	v_addc_co_u32_e32 v8, vcc, 0, v9, vcc
	v_mul_f64 v[5:6], v[5:6], s[14:15]
	v_cmp_gt_i32_e32 vcc, 31, v7
	v_cndmask_b32_e32 v8, v4, v8, vcc
	v_cmp_ne_u32_e32 vcc, 0, v0
	v_cndmask_b32_e64 v0, 0, 1, vcc
	v_lshl_or_b32 v0, v0, 9, v4
	v_cmp_eq_u32_e32 vcc, s16, v7
	v_cndmask_b32_e32 v0, v8, v0, vcc
	v_lshrrev_b32_e32 v1, 16, v1
	v_and_or_b32 v0, v1, s10, v0
	v_and_or_b32 v1, v6, s18, v5
	v_cmp_ne_u32_e32 vcc, 0, v1
	v_cndmask_b32_e64 v1, 0, 1, vcc
	v_lshrrev_b32_e32 v5, 8, v6
	v_bfe_u32 v7, v6, 20, 11
	v_and_or_b32 v1, v5, s17, v1
	v_sub_u32_e32 v8, 0x3f1, v7
	v_or_b32_e32 v5, 0x1000, v1
	v_med3_i32 v8, v8, 0, 13
	v_lshrrev_b32_e32 v9, v8, v5
	v_lshlrev_b32_e32 v8, v8, v9
	v_cmp_ne_u32_e32 vcc, v8, v5
	v_cndmask_b32_e64 v5, 0, 1, vcc
	v_add_u32_e32 v7, 0xfffffc10, v7
	v_or_b32_e32 v5, v9, v5
	v_lshl_or_b32 v8, v7, 12, v1
	v_cmp_gt_i32_e32 vcc, 1, v7
	v_cndmask_b32_e32 v5, v8, v5, vcc
	v_and_b32_e32 v8, 7, v5
	v_cmp_lt_i32_e32 vcc, 5, v8
	v_cmp_eq_u32_e64 s[0:1], 3, v8
	v_lshrrev_b32_e32 v5, 2, v5
	s_or_b64 vcc, s[0:1], vcc
	v_addc_co_u32_e32 v5, vcc, 0, v5, vcc
	v_cmp_gt_i32_e32 vcc, 31, v7
	v_cndmask_b32_e32 v5, v4, v5, vcc
	v_cmp_ne_u32_e32 vcc, 0, v1
	v_cndmask_b32_e64 v1, 0, 1, vcc
	v_lshl_or_b32 v1, v1, 9, v4
	v_cmp_eq_u32_e32 vcc, s16, v7
	v_cndmask_b32_e32 v1, v5, v1, vcc
	v_lshrrev_b32_e32 v4, 16, v6
	v_and_or_b32 v1, v4, s10, v1
	v_and_b32_e32 v0, 0xffff, v0
	v_lshl_or_b32 v4, v1, 16, v0
	v_mov_b32_e32 v1, s2
	v_add_co_u32_e32 v0, vcc, s3, v2
	v_addc_co_u32_e32 v1, vcc, v3, v1, vcc
	global_store_dword v[0:1], v4, off
.LBB0_23:
	s_endpgm
	.section	.rodata,"a",@progbits
	.p2align	6, 0x0
	.amdhsa_kernel bluestein_single_fwd_len440_dim1_half_op_CI_CI
		.amdhsa_group_segment_fixed_size 1760
		.amdhsa_private_segment_fixed_size 0
		.amdhsa_kernarg_size 104
		.amdhsa_user_sgpr_count 6
		.amdhsa_user_sgpr_private_segment_buffer 1
		.amdhsa_user_sgpr_dispatch_ptr 0
		.amdhsa_user_sgpr_queue_ptr 0
		.amdhsa_user_sgpr_kernarg_segment_ptr 1
		.amdhsa_user_sgpr_dispatch_id 0
		.amdhsa_user_sgpr_flat_scratch_init 0
		.amdhsa_user_sgpr_private_segment_size 0
		.amdhsa_uses_dynamic_stack 0
		.amdhsa_system_sgpr_private_segment_wavefront_offset 0
		.amdhsa_system_sgpr_workgroup_id_x 1
		.amdhsa_system_sgpr_workgroup_id_y 0
		.amdhsa_system_sgpr_workgroup_id_z 0
		.amdhsa_system_sgpr_workgroup_info 0
		.amdhsa_system_vgpr_workitem_id 0
		.amdhsa_next_free_vgpr 131
		.amdhsa_next_free_sgpr 26
		.amdhsa_reserve_vcc 1
		.amdhsa_reserve_flat_scratch 0
		.amdhsa_float_round_mode_32 0
		.amdhsa_float_round_mode_16_64 0
		.amdhsa_float_denorm_mode_32 3
		.amdhsa_float_denorm_mode_16_64 3
		.amdhsa_dx10_clamp 1
		.amdhsa_ieee_mode 1
		.amdhsa_fp16_overflow 0
		.amdhsa_exception_fp_ieee_invalid_op 0
		.amdhsa_exception_fp_denorm_src 0
		.amdhsa_exception_fp_ieee_div_zero 0
		.amdhsa_exception_fp_ieee_overflow 0
		.amdhsa_exception_fp_ieee_underflow 0
		.amdhsa_exception_fp_ieee_inexact 0
		.amdhsa_exception_int_div_zero 0
	.end_amdhsa_kernel
	.text
.Lfunc_end0:
	.size	bluestein_single_fwd_len440_dim1_half_op_CI_CI, .Lfunc_end0-bluestein_single_fwd_len440_dim1_half_op_CI_CI
                                        ; -- End function
	.section	.AMDGPU.csdata,"",@progbits
; Kernel info:
; codeLenInByte = 16380
; NumSgprs: 30
; NumVgprs: 131
; ScratchSize: 0
; MemoryBound: 0
; FloatMode: 240
; IeeeMode: 1
; LDSByteSize: 1760 bytes/workgroup (compile time only)
; SGPRBlocks: 3
; VGPRBlocks: 32
; NumSGPRsForWavesPerEU: 30
; NumVGPRsForWavesPerEU: 131
; Occupancy: 1
; WaveLimiterHint : 1
; COMPUTE_PGM_RSRC2:SCRATCH_EN: 0
; COMPUTE_PGM_RSRC2:USER_SGPR: 6
; COMPUTE_PGM_RSRC2:TRAP_HANDLER: 0
; COMPUTE_PGM_RSRC2:TGID_X_EN: 1
; COMPUTE_PGM_RSRC2:TGID_Y_EN: 0
; COMPUTE_PGM_RSRC2:TGID_Z_EN: 0
; COMPUTE_PGM_RSRC2:TIDIG_COMP_CNT: 0
	.type	__hip_cuid_e049564b4acc7d12,@object ; @__hip_cuid_e049564b4acc7d12
	.section	.bss,"aw",@nobits
	.globl	__hip_cuid_e049564b4acc7d12
__hip_cuid_e049564b4acc7d12:
	.byte	0                               ; 0x0
	.size	__hip_cuid_e049564b4acc7d12, 1

	.ident	"AMD clang version 19.0.0git (https://github.com/RadeonOpenCompute/llvm-project roc-6.4.0 25133 c7fe45cf4b819c5991fe208aaa96edf142730f1d)"
	.section	".note.GNU-stack","",@progbits
	.addrsig
	.addrsig_sym __hip_cuid_e049564b4acc7d12
	.amdgpu_metadata
---
amdhsa.kernels:
  - .args:
      - .actual_access:  read_only
        .address_space:  global
        .offset:         0
        .size:           8
        .value_kind:     global_buffer
      - .actual_access:  read_only
        .address_space:  global
        .offset:         8
        .size:           8
        .value_kind:     global_buffer
      - .actual_access:  read_only
        .address_space:  global
        .offset:         16
        .size:           8
        .value_kind:     global_buffer
      - .actual_access:  read_only
        .address_space:  global
        .offset:         24
        .size:           8
        .value_kind:     global_buffer
      - .actual_access:  read_only
        .address_space:  global
        .offset:         32
        .size:           8
        .value_kind:     global_buffer
      - .offset:         40
        .size:           8
        .value_kind:     by_value
      - .address_space:  global
        .offset:         48
        .size:           8
        .value_kind:     global_buffer
      - .address_space:  global
        .offset:         56
        .size:           8
        .value_kind:     global_buffer
      - .address_space:  global
        .offset:         64
        .size:           8
        .value_kind:     global_buffer
      - .address_space:  global
        .offset:         72
        .size:           8
        .value_kind:     global_buffer
      - .offset:         80
        .size:           4
        .value_kind:     by_value
      - .address_space:  global
        .offset:         88
        .size:           8
        .value_kind:     global_buffer
      - .address_space:  global
        .offset:         96
        .size:           8
        .value_kind:     global_buffer
    .group_segment_fixed_size: 1760
    .kernarg_segment_align: 8
    .kernarg_segment_size: 104
    .language:       OpenCL C
    .language_version:
      - 2
      - 0
    .max_flat_workgroup_size: 55
    .name:           bluestein_single_fwd_len440_dim1_half_op_CI_CI
    .private_segment_fixed_size: 0
    .sgpr_count:     30
    .sgpr_spill_count: 0
    .symbol:         bluestein_single_fwd_len440_dim1_half_op_CI_CI.kd
    .uniform_work_group_size: 1
    .uses_dynamic_stack: false
    .vgpr_count:     131
    .vgpr_spill_count: 0
    .wavefront_size: 64
amdhsa.target:   amdgcn-amd-amdhsa--gfx906
amdhsa.version:
  - 1
  - 2
...

	.end_amdgpu_metadata
